;; amdgpu-corpus repo=ROCm/rocFFT kind=compiled arch=gfx1030 opt=O3
	.text
	.amdgcn_target "amdgcn-amd-amdhsa--gfx1030"
	.amdhsa_code_object_version 6
	.protected	bluestein_single_back_len1960_dim1_half_op_CI_CI ; -- Begin function bluestein_single_back_len1960_dim1_half_op_CI_CI
	.globl	bluestein_single_back_len1960_dim1_half_op_CI_CI
	.p2align	8
	.type	bluestein_single_back_len1960_dim1_half_op_CI_CI,@function
bluestein_single_back_len1960_dim1_half_op_CI_CI: ; @bluestein_single_back_len1960_dim1_half_op_CI_CI
; %bb.0:
	s_load_dwordx4 s[8:11], s[4:5], 0x28
	v_mul_u32_u24_e32 v1, 0x493, v0
	s_mov_b64 s[22:23], s[2:3]
	s_mov_b64 s[20:21], s[0:1]
	v_mov_b32_e32 v59, 0
	s_add_u32 s20, s20, s7
	v_lshrrev_b32_e32 v1, 16, v1
	s_addc_u32 s21, s21, 0
	s_mov_b32 s0, exec_lo
	v_add_nc_u32_e32 v58, s6, v1
	s_waitcnt lgkmcnt(0)
	v_cmpx_gt_u64_e64 s[8:9], v[58:59]
	s_cbranch_execz .LBB0_25
; %bb.1:
	s_clause 0x1
	s_load_dwordx4 s[0:3], s[4:5], 0x18
	s_load_dwordx2 s[16:17], s[4:5], 0x0
	v_mul_lo_u16 v1, v1, 56
	v_sub_nc_u16 v0, v0, v1
	v_and_b32_e32 v133, 0xffff, v0
	v_lshlrev_b32_e32 v102, 2, v133
	v_or_b32_e32 v56, 0x1c0, v133
	s_waitcnt lgkmcnt(0)
	s_load_dwordx4 s[12:15], s[0:1], 0x0
	s_clause 0x1
	global_load_dword v135, v102, s[16:17]
	global_load_dword v134, v102, s[16:17] offset:1960
	v_add_co_u32 v54, s0, s16, v102
	v_add_co_ci_u32_e64 v55, null, s17, 0, s0
	v_add_nc_u32_e32 v18, 0x1000, v102
	v_add_co_u32 v50, vcc_lo, 0x800, v54
	v_add_co_ci_u32_e32 v51, vcc_lo, 0, v55, vcc_lo
	v_add_co_u32 v48, vcc_lo, 0x1000, v54
	v_add_co_ci_u32_e32 v49, vcc_lo, 0, v55, vcc_lo
	global_load_dword v132, v[50:51], off offset:1872
	v_add_nc_u32_e32 v42, 0x1600, v102
	v_add_nc_u32_e32 v17, 0x1800, v102
	;; [unrolled: 1-line block ×3, first 2 shown]
	s_waitcnt lgkmcnt(0)
	v_mad_u64_u32 v[0:1], null, s14, v58, 0
	v_mad_u64_u32 v[2:3], null, s12, v133, 0
	s_mul_i32 s1, s13, 0x1ea
	s_mul_hi_u32 s7, s12, 0x1ea
	s_mul_i32 s6, s12, 0x1ea
	s_add_i32 s7, s7, s1
	s_mul_hi_u32 s9, s12, 0xffffe9e8
	s_mul_i32 s8, s13, 0xffffe9e8
	v_mad_u64_u32 v[4:5], null, s15, v58, v[1:2]
	v_mov_b32_e32 v1, v3
	s_lshl_b64 s[14:15], s[6:7], 2
	s_mul_i32 s0, s12, 0xffffe9e8
	s_sub_i32 s1, s9, s12
	v_add_nc_u32_e32 v44, 0x1200, v102
	v_mad_u64_u32 v[5:6], null, s13, v133, v[1:2]
	v_mov_b32_e32 v1, v4
	s_add_i32 s1, s1, s8
	s_load_dwordx2 s[6:7], s[4:5], 0x38
	v_add_nc_u32_e32 v45, 0x1a00, v102
	v_add_nc_u32_e32 v19, 0x400, v102
	v_lshlrev_b64 v[0:1], 2, v[0:1]
	v_mov_b32_e32 v3, v5
	v_lshlrev_b64 v[4:5], 2, v[2:3]
	v_add_co_u32 v2, vcc_lo, s10, v0
	v_add_co_ci_u32_e32 v3, vcc_lo, s11, v1, vcc_lo
	v_add_co_u32 v0, vcc_lo, v2, v4
	v_add_co_ci_u32_e32 v1, vcc_lo, v3, v5, vcc_lo
	global_load_dword v6, v[0:1], off
	v_add_co_u32 v0, vcc_lo, v0, s14
	v_add_co_ci_u32_e32 v1, vcc_lo, s15, v1, vcc_lo
	v_add_co_u32 v4, vcc_lo, v0, s14
	v_add_co_ci_u32_e32 v5, vcc_lo, s15, v1, vcc_lo
	s_clause 0x1
	global_load_dword v7, v[0:1], off
	global_load_dword v8, v[4:5], off
	v_add_co_u32 v0, vcc_lo, v4, s14
	v_add_co_ci_u32_e32 v1, vcc_lo, s15, v5, vcc_lo
	v_add_co_u32 v4, vcc_lo, v0, s0
	v_add_co_ci_u32_e32 v5, vcc_lo, s1, v1, vcc_lo
	global_load_dword v9, v[0:1], off
	global_load_dword v131, v[48:49], off offset:1784
	global_load_dword v10, v[4:5], off
	v_add_co_u32 v0, vcc_lo, v4, s14
	v_add_co_ci_u32_e32 v1, vcc_lo, s15, v5, vcc_lo
	s_clause 0x3
	global_load_dword v130, v102, s[16:17] offset:224
	global_load_dword v126, v102, s[16:17] offset:448
	global_load_dword v129, v[50:51], off offset:136
	global_load_dword v128, v[48:49], off offset:48
	global_load_dword v11, v[0:1], off
	v_add_co_u32 v0, vcc_lo, v0, s14
	v_add_co_ci_u32_e32 v1, vcc_lo, s15, v1, vcc_lo
	global_load_dword v127, v[48:49], off offset:2008
	v_add_co_u32 v4, vcc_lo, v0, s14
	v_add_co_ci_u32_e32 v5, vcc_lo, s15, v1, vcc_lo
	global_load_dword v12, v[0:1], off
	v_add_co_u32 v0, vcc_lo, v4, s0
	v_add_co_ci_u32_e32 v1, vcc_lo, s1, v5, vcc_lo
	global_load_dword v13, v[4:5], off
	;; [unrolled: 3-line block ×3, first 2 shown]
	v_add_co_u32 v0, vcc_lo, v4, s14
	v_add_co_ci_u32_e32 v1, vcc_lo, s15, v5, vcc_lo
	v_add_co_u32 v52, vcc_lo, 0x1800, v54
	v_add_co_ci_u32_e32 v53, vcc_lo, 0, v55, vcc_lo
	global_load_dword v15, v[4:5], off
	global_load_dword v125, v[50:51], off offset:360
	global_load_dword v20, v[0:1], off
	v_add_co_u32 v0, vcc_lo, v0, s14
	v_add_co_ci_u32_e32 v1, vcc_lo, s15, v1, vcc_lo
	global_load_dword v124, v[48:49], off offset:272
	v_add_co_u32 v4, vcc_lo, v0, s0
	v_add_co_ci_u32_e32 v5, vcc_lo, s1, v1, vcc_lo
	global_load_dword v21, v[0:1], off
	s_clause 0x1
	global_load_dword v123, v[52:53], off offset:184
	global_load_dword v122, v102, s[16:17] offset:672
	global_load_dword v22, v[4:5], off
	v_add_co_u32 v0, vcc_lo, v4, s14
	v_add_co_ci_u32_e32 v1, vcc_lo, s15, v5, vcc_lo
	v_add_co_u32 v4, vcc_lo, v0, s14
	v_add_co_ci_u32_e32 v5, vcc_lo, s15, v1, vcc_lo
	global_load_dword v23, v[0:1], off
	s_clause 0x2
	global_load_dword v121, v[50:51], off offset:584
	global_load_dword v118, v102, s[16:17] offset:896
	global_load_dword v120, v[48:49], off offset:496
	global_load_dword v24, v[4:5], off
	v_add_co_u32 v0, vcc_lo, v4, s14
	v_add_co_ci_u32_e32 v1, vcc_lo, s15, v5, vcc_lo
	global_load_dword v119, v[52:53], off offset:408
	v_add_co_u32 v4, vcc_lo, v0, s0
	v_add_co_ci_u32_e32 v5, vcc_lo, s1, v1, vcc_lo
	global_load_dword v25, v[0:1], off
	v_add_co_u32 v0, vcc_lo, v4, s14
	v_add_co_ci_u32_e32 v1, vcc_lo, s15, v5, vcc_lo
	global_load_dword v26, v[4:5], off
	;; [unrolled: 3-line block ×3, first 2 shown]
	global_load_dword v117, v[50:51], off offset:808
	global_load_dword v28, v[4:5], off
	v_add_co_u32 v0, vcc_lo, v4, s14
	v_add_co_ci_u32_e32 v1, vcc_lo, s15, v5, vcc_lo
	global_load_dword v116, v[48:49], off offset:720
	v_add_co_u32 v4, vcc_lo, v0, s0
	v_add_co_ci_u32_e32 v5, vcc_lo, s1, v1, vcc_lo
	global_load_dword v29, v[0:1], off
	s_clause 0x1
	global_load_dword v115, v[52:53], off offset:632
	global_load_dword v114, v102, s[16:17] offset:1120
	global_load_dword v30, v[4:5], off
	v_add_co_u32 v0, vcc_lo, v4, s14
	v_add_co_ci_u32_e32 v1, vcc_lo, s15, v5, vcc_lo
	v_add_co_u32 v4, vcc_lo, v0, s14
	v_add_co_ci_u32_e32 v5, vcc_lo, s15, v1, vcc_lo
	global_load_dword v31, v[0:1], off
	s_clause 0x2
	global_load_dword v113, v[50:51], off offset:1032
	global_load_dword v110, v102, s[16:17] offset:1344
	global_load_dword v112, v[48:49], off offset:944
	global_load_dword v32, v[4:5], off
	v_add_co_u32 v0, vcc_lo, v4, s14
	v_add_co_ci_u32_e32 v1, vcc_lo, s15, v5, vcc_lo
	global_load_dword v111, v[52:53], off offset:856
	v_add_co_u32 v4, vcc_lo, v0, s0
	v_add_co_ci_u32_e32 v5, vcc_lo, s1, v1, vcc_lo
	global_load_dword v33, v[0:1], off
	v_add_co_u32 v0, vcc_lo, v4, s14
	v_add_co_ci_u32_e32 v1, vcc_lo, s15, v5, vcc_lo
	global_load_dword v34, v[4:5], off
	v_add_co_u32 v4, vcc_lo, v0, s14
	v_add_co_ci_u32_e32 v5, vcc_lo, s15, v1, vcc_lo
	s_clause 0x1
	global_load_dword v106, v102, s[16:17] offset:1568
	global_load_dword v109, v[50:51], off offset:1256
	global_load_dword v35, v[0:1], off
	global_load_dword v108, v[48:49], off offset:1168
	global_load_dword v36, v[4:5], off
	v_add_co_u32 v0, vcc_lo, v4, s14
	v_add_co_ci_u32_e32 v1, vcc_lo, s15, v5, vcc_lo
	global_load_dword v107, v[52:53], off offset:1080
	v_add_co_u32 v4, vcc_lo, v0, s0
	v_add_co_ci_u32_e32 v5, vcc_lo, s1, v1, vcc_lo
	global_load_dword v37, v[0:1], off
	v_add_co_u32 v0, vcc_lo, v4, s14
	v_add_co_ci_u32_e32 v1, vcc_lo, s15, v5, vcc_lo
	global_load_dword v38, v[4:5], off
	;; [unrolled: 3-line block ×3, first 2 shown]
	v_add_co_u32 v0, vcc_lo, v4, s14
	v_add_co_ci_u32_e32 v1, vcc_lo, s15, v5, vcc_lo
	global_load_dword v105, v[50:51], off offset:1480
	global_load_dword v40, v[4:5], off
	global_load_dword v41, v[0:1], off
	s_clause 0x1
	global_load_dword v104, v[48:49], off offset:1392
	global_load_dword v103, v[52:53], off offset:1304
	v_add_nc_u32_e32 v4, 0x800, v102
	v_add_nc_u32_e32 v5, 0x200, v102
	s_load_dwordx4 s[8:11], s[2:3], 0x0
	s_mov_b32 s0, 0
	v_mov_b32_e32 v57, s0
	v_cmp_lt_u64_e64 s0, 0x1e9, v[56:57]
	v_cmp_gt_u64_e32 vcc_lo, 0x1ea, v[56:57]
	s_waitcnt vmcnt(60)
	v_lshrrev_b32_e32 v43, 16, v6
	v_mul_f16_sdwa v46, v135, v6 dst_sel:DWORD dst_unused:UNUSED_PAD src0_sel:WORD_1 src1_sel:DWORD
	v_mul_f16_sdwa v47, v135, v43 dst_sel:DWORD dst_unused:UNUSED_PAD src0_sel:WORD_1 src1_sel:DWORD
	v_fma_f16 v43, v135, v43, -v46
	s_waitcnt vmcnt(59)
	v_lshrrev_b32_e32 v59, 16, v7
	v_mul_f16_sdwa v60, v134, v7 dst_sel:DWORD dst_unused:UNUSED_PAD src0_sel:WORD_1 src1_sel:DWORD
	v_fmac_f16_e32 v47, v135, v6
	s_waitcnt vmcnt(58)
	v_lshrrev_b32_e32 v46, 16, v8
	v_mul_f16_sdwa v6, v134, v59 dst_sel:DWORD dst_unused:UNUSED_PAD src0_sel:WORD_1 src1_sel:DWORD
	v_fma_f16 v59, v134, v59, -v60
	v_mul_f16_sdwa v60, v132, v8 dst_sel:DWORD dst_unused:UNUSED_PAD src0_sel:WORD_1 src1_sel:DWORD
	v_pack_b32_f16 v43, v47, v43
	v_fmac_f16_e32 v6, v134, v7
	v_mul_f16_sdwa v7, v132, v46 dst_sel:DWORD dst_unused:UNUSED_PAD src0_sel:WORD_1 src1_sel:DWORD
	s_waitcnt vmcnt(57)
	v_lshrrev_b32_e32 v47, 16, v9
	s_waitcnt vmcnt(56)
	v_mul_f16_sdwa v61, v131, v9 dst_sel:DWORD dst_unused:UNUSED_PAD src0_sel:WORD_1 src1_sel:DWORD
	v_fma_f16 v46, v132, v46, -v60
	v_pack_b32_f16 v6, v6, v59
	v_fmac_f16_e32 v7, v132, v8
	v_mul_f16_sdwa v8, v131, v47 dst_sel:DWORD dst_unused:UNUSED_PAD src0_sel:WORD_1 src1_sel:DWORD
	s_waitcnt vmcnt(55)
	v_lshrrev_b32_e32 v59, 16, v10
	s_waitcnt vmcnt(54)
	v_mul_f16_sdwa v60, v130, v10 dst_sel:DWORD dst_unused:UNUSED_PAD src0_sel:WORD_1 src1_sel:DWORD
	v_fma_f16 v47, v131, v47, -v61
	ds_write_b32 v102, v6 offset:1960
	v_pack_b32_f16 v6, v7, v46
	v_fmac_f16_e32 v8, v131, v9
	v_mul_f16_sdwa v7, v130, v59 dst_sel:DWORD dst_unused:UNUSED_PAD src0_sel:WORD_1 src1_sel:DWORD
	v_fma_f16 v9, v130, v59, -v60
	s_waitcnt vmcnt(50)
	v_lshrrev_b32_e32 v46, 16, v11
	v_mul_f16_sdwa v59, v129, v11 dst_sel:DWORD dst_unused:UNUSED_PAD src0_sel:WORD_1 src1_sel:DWORD
	ds_write_b32 v102, v6 offset:3920
	v_pack_b32_f16 v6, v8, v47
	v_fmac_f16_e32 v7, v130, v10
	v_mul_f16_sdwa v8, v129, v46 dst_sel:DWORD dst_unused:UNUSED_PAD src0_sel:WORD_1 src1_sel:DWORD
	v_fma_f16 v10, v129, v46, -v59
	s_waitcnt vmcnt(48)
	v_lshrrev_b32_e32 v46, 16, v12
	v_mul_f16_sdwa v47, v128, v12 dst_sel:DWORD dst_unused:UNUSED_PAD src0_sel:WORD_1 src1_sel:DWORD
	ds_write_b32 v102, v6 offset:5880
	v_pack_b32_f16 v6, v7, v9
	v_fmac_f16_e32 v8, v129, v11
	v_mul_f16_sdwa v7, v128, v46 dst_sel:DWORD dst_unused:UNUSED_PAD src0_sel:WORD_1 src1_sel:DWORD
	s_waitcnt vmcnt(47)
	v_lshrrev_b32_e32 v11, 16, v13
	v_fma_f16 v9, v128, v46, -v47
	v_mul_f16_sdwa v46, v127, v13 dst_sel:DWORD dst_unused:UNUSED_PAD src0_sel:WORD_1 src1_sel:DWORD
	ds_write2_b32 v102, v43, v6 offset1:56
	v_pack_b32_f16 v6, v8, v10
	v_fmac_f16_e32 v7, v128, v12
	v_mul_f16_sdwa v8, v127, v11 dst_sel:DWORD dst_unused:UNUSED_PAD src0_sel:WORD_1 src1_sel:DWORD
	s_waitcnt vmcnt(46)
	v_lshrrev_b32_e32 v10, 16, v14
	v_fma_f16 v11, v127, v11, -v46
	v_mul_f16_sdwa v12, v126, v14 dst_sel:DWORD dst_unused:UNUSED_PAD src0_sel:WORD_1 src1_sel:DWORD
	v_pack_b32_f16 v7, v7, v9
	v_fmac_f16_e32 v8, v127, v13
	v_mul_f16_sdwa v9, v126, v10 dst_sel:DWORD dst_unused:UNUSED_PAD src0_sel:WORD_1 src1_sel:DWORD
	s_waitcnt vmcnt(45)
	v_lshrrev_b32_e32 v13, 16, v15
	v_fma_f16 v10, v126, v10, -v12
	s_waitcnt vmcnt(44)
	v_mul_f16_sdwa v12, v125, v15 dst_sel:DWORD dst_unused:UNUSED_PAD src0_sel:WORD_1 src1_sel:DWORD
	v_pack_b32_f16 v8, v8, v11
	v_fmac_f16_e32 v9, v126, v14
	v_mul_f16_sdwa v11, v125, v13 dst_sel:DWORD dst_unused:UNUSED_PAD src0_sel:WORD_1 src1_sel:DWORD
	s_waitcnt vmcnt(43)
	v_lshrrev_b32_e32 v14, 16, v20
	v_fma_f16 v12, v125, v13, -v12
	s_waitcnt vmcnt(42)
	v_mul_f16_sdwa v13, v124, v20 dst_sel:DWORD dst_unused:UNUSED_PAD src0_sel:WORD_1 src1_sel:DWORD
	v_pack_b32_f16 v9, v9, v10
	v_fmac_f16_e32 v11, v125, v15
	v_mul_f16_sdwa v10, v124, v14 dst_sel:DWORD dst_unused:UNUSED_PAD src0_sel:WORD_1 src1_sel:DWORD
	s_waitcnt vmcnt(41)
	v_lshrrev_b32_e32 v15, 16, v21
	s_waitcnt vmcnt(40)
	v_mul_f16_sdwa v43, v123, v21 dst_sel:DWORD dst_unused:UNUSED_PAD src0_sel:WORD_1 src1_sel:DWORD
	v_fma_f16 v13, v124, v14, -v13
	v_pack_b32_f16 v11, v11, v12
	v_fmac_f16_e32 v10, v124, v20
	v_mul_f16_sdwa v12, v123, v15 dst_sel:DWORD dst_unused:UNUSED_PAD src0_sel:WORD_1 src1_sel:DWORD
	v_fma_f16 v14, v123, v15, -v43
	s_waitcnt vmcnt(38)
	v_lshrrev_b32_e32 v15, 16, v22
	v_mul_f16_sdwa v20, v122, v22 dst_sel:DWORD dst_unused:UNUSED_PAD src0_sel:WORD_1 src1_sel:DWORD
	ds_write2_b32 v4, v6, v11 offset0:34 offset1:90
	v_pack_b32_f16 v6, v10, v13
	v_fmac_f16_e32 v12, v123, v21
	v_mul_f16_sdwa v10, v122, v15 dst_sel:DWORD dst_unused:UNUSED_PAD src0_sel:WORD_1 src1_sel:DWORD
	v_fma_f16 v11, v122, v15, -v20
	s_waitcnt vmcnt(37)
	v_lshrrev_b32_e32 v13, 16, v23
	s_waitcnt vmcnt(36)
	v_mul_f16_sdwa v15, v121, v23 dst_sel:DWORD dst_unused:UNUSED_PAD src0_sel:WORD_1 src1_sel:DWORD
	ds_write2_b32 v18, v7, v6 offset0:12 offset1:68
	v_pack_b32_f16 v6, v12, v14
	v_fmac_f16_e32 v10, v122, v22
	v_mul_f16_sdwa v7, v121, v13 dst_sel:DWORD dst_unused:UNUSED_PAD src0_sel:WORD_1 src1_sel:DWORD
	v_fma_f16 v12, v121, v13, -v15
	s_waitcnt vmcnt(33)
	v_lshrrev_b32_e32 v13, 16, v24
	v_mul_f16_sdwa v14, v120, v24 dst_sel:DWORD dst_unused:UNUSED_PAD src0_sel:WORD_1 src1_sel:DWORD
	ds_write2_b32 v42, v8, v6 offset0:118 offset1:174
	v_pack_b32_f16 v6, v10, v11
	v_fmac_f16_e32 v7, v121, v23
	v_mul_f16_sdwa v8, v120, v13 dst_sel:DWORD dst_unused:UNUSED_PAD src0_sel:WORD_1 src1_sel:DWORD
	s_waitcnt vmcnt(31)
	v_lshrrev_b32_e32 v11, 16, v25
	v_fma_f16 v10, v120, v13, -v14
	v_mul_f16_sdwa v13, v119, v25 dst_sel:DWORD dst_unused:UNUSED_PAD src0_sel:WORD_1 src1_sel:DWORD
	ds_write2_b32 v102, v9, v6 offset0:112 offset1:168
	v_pack_b32_f16 v6, v7, v12
	v_fmac_f16_e32 v8, v120, v24
	v_mul_f16_sdwa v7, v119, v11 dst_sel:DWORD dst_unused:UNUSED_PAD src0_sel:WORD_1 src1_sel:DWORD
	s_waitcnt vmcnt(30)
	v_lshrrev_b32_e32 v9, 16, v26
	v_fma_f16 v11, v119, v11, -v13
	v_mul_f16_sdwa v12, v118, v26 dst_sel:DWORD dst_unused:UNUSED_PAD src0_sel:WORD_1 src1_sel:DWORD
	v_pack_b32_f16 v8, v8, v10
	v_fmac_f16_e32 v7, v119, v25
	v_mul_f16_sdwa v10, v118, v9 dst_sel:DWORD dst_unused:UNUSED_PAD src0_sel:WORD_1 src1_sel:DWORD
	s_waitcnt vmcnt(29)
	v_lshrrev_b32_e32 v13, 16, v27
	v_fma_f16 v9, v118, v9, -v12
	s_waitcnt vmcnt(28)
	v_mul_f16_sdwa v12, v117, v27 dst_sel:DWORD dst_unused:UNUSED_PAD src0_sel:WORD_1 src1_sel:DWORD
	v_pack_b32_f16 v7, v7, v11
	v_fmac_f16_e32 v10, v118, v26
	v_mul_f16_sdwa v11, v117, v13 dst_sel:DWORD dst_unused:UNUSED_PAD src0_sel:WORD_1 src1_sel:DWORD
	s_waitcnt vmcnt(27)
	v_lshrrev_b32_e32 v14, 16, v28
	v_fma_f16 v12, v117, v13, -v12
	s_waitcnt vmcnt(26)
	v_mul_f16_sdwa v13, v116, v28 dst_sel:DWORD dst_unused:UNUSED_PAD src0_sel:WORD_1 src1_sel:DWORD
	v_pack_b32_f16 v9, v10, v9
	v_fmac_f16_e32 v11, v117, v27
	v_mul_f16_sdwa v10, v116, v14 dst_sel:DWORD dst_unused:UNUSED_PAD src0_sel:WORD_1 src1_sel:DWORD
	s_waitcnt vmcnt(25)
	v_lshrrev_b32_e32 v15, 16, v29
	s_waitcnt vmcnt(24)
	v_mul_f16_sdwa v20, v115, v29 dst_sel:DWORD dst_unused:UNUSED_PAD src0_sel:WORD_1 src1_sel:DWORD
	v_fma_f16 v13, v116, v14, -v13
	v_pack_b32_f16 v11, v11, v12
	v_fmac_f16_e32 v10, v116, v28
	v_mul_f16_sdwa v12, v115, v15 dst_sel:DWORD dst_unused:UNUSED_PAD src0_sel:WORD_1 src1_sel:DWORD
	v_fma_f16 v14, v115, v15, -v20
	s_waitcnt vmcnt(22)
	v_lshrrev_b32_e32 v15, 16, v30
	v_mul_f16_sdwa v20, v114, v30 dst_sel:DWORD dst_unused:UNUSED_PAD src0_sel:WORD_1 src1_sel:DWORD
	ds_write2_b32 v4, v6, v11 offset0:146 offset1:202
	v_pack_b32_f16 v6, v10, v13
	v_fmac_f16_e32 v12, v115, v29
	v_mul_f16_sdwa v10, v114, v15 dst_sel:DWORD dst_unused:UNUSED_PAD src0_sel:WORD_1 src1_sel:DWORD
	v_fma_f16 v11, v114, v15, -v20
	s_waitcnt vmcnt(21)
	v_lshrrev_b32_e32 v13, 16, v31
	s_waitcnt vmcnt(20)
	v_mul_f16_sdwa v15, v113, v31 dst_sel:DWORD dst_unused:UNUSED_PAD src0_sel:WORD_1 src1_sel:DWORD
	ds_write2_b32 v18, v8, v6 offset0:124 offset1:180
	v_pack_b32_f16 v6, v12, v14
	v_fmac_f16_e32 v10, v114, v30
	v_mul_f16_sdwa v8, v113, v13 dst_sel:DWORD dst_unused:UNUSED_PAD src0_sel:WORD_1 src1_sel:DWORD
	v_fma_f16 v12, v113, v13, -v15
	s_waitcnt vmcnt(17)
	v_lshrrev_b32_e32 v13, 16, v32
	v_mul_f16_sdwa v14, v112, v32 dst_sel:DWORD dst_unused:UNUSED_PAD src0_sel:WORD_1 src1_sel:DWORD
	ds_write2_b32 v17, v7, v6 offset0:102 offset1:158
	v_pack_b32_f16 v6, v10, v11
	v_fmac_f16_e32 v8, v113, v31
	v_mul_f16_sdwa v7, v112, v13 dst_sel:DWORD dst_unused:UNUSED_PAD src0_sel:WORD_1 src1_sel:DWORD
	s_waitcnt vmcnt(15)
	v_lshrrev_b32_e32 v11, 16, v33
	v_fma_f16 v10, v112, v13, -v14
	v_mul_f16_sdwa v13, v111, v33 dst_sel:DWORD dst_unused:UNUSED_PAD src0_sel:WORD_1 src1_sel:DWORD
	ds_write2_b32 v5, v9, v6 offset0:96 offset1:152
	v_pack_b32_f16 v6, v8, v12
	v_fmac_f16_e32 v7, v112, v32
	v_mul_f16_sdwa v8, v111, v11 dst_sel:DWORD dst_unused:UNUSED_PAD src0_sel:WORD_1 src1_sel:DWORD
	s_waitcnt vmcnt(14)
	v_lshrrev_b32_e32 v9, 16, v34
	v_fma_f16 v11, v111, v11, -v13
	v_mul_f16_sdwa v12, v110, v34 dst_sel:DWORD dst_unused:UNUSED_PAD src0_sel:WORD_1 src1_sel:DWORD
	v_pack_b32_f16 v7, v7, v10
	v_fmac_f16_e32 v8, v111, v33
	v_mul_f16_sdwa v10, v110, v9 dst_sel:DWORD dst_unused:UNUSED_PAD src0_sel:WORD_1 src1_sel:DWORD
	s_waitcnt vmcnt(11)
	v_lshrrev_b32_e32 v13, 16, v35
	v_fma_f16 v9, v110, v9, -v12
	v_mul_f16_sdwa v12, v109, v35 dst_sel:DWORD dst_unused:UNUSED_PAD src0_sel:WORD_1 src1_sel:DWORD
	;; [unrolled: 7-line block ×3, first 2 shown]
	v_pack_b32_f16 v9, v10, v9
	v_fmac_f16_e32 v11, v109, v35
	v_mul_f16_sdwa v10, v108, v14 dst_sel:DWORD dst_unused:UNUSED_PAD src0_sel:WORD_1 src1_sel:DWORD
	s_waitcnt vmcnt(7)
	v_lshrrev_b32_e32 v15, 16, v37
	v_mul_f16_sdwa v20, v107, v37 dst_sel:DWORD dst_unused:UNUSED_PAD src0_sel:WORD_1 src1_sel:DWORD
	v_fma_f16 v13, v108, v14, -v13
	v_pack_b32_f16 v11, v11, v12
	v_fmac_f16_e32 v10, v108, v36
	v_mul_f16_sdwa v12, v107, v15 dst_sel:DWORD dst_unused:UNUSED_PAD src0_sel:WORD_1 src1_sel:DWORD
	v_fma_f16 v14, v107, v15, -v20
	s_waitcnt vmcnt(6)
	v_lshrrev_b32_e32 v15, 16, v38
	v_mul_f16_sdwa v20, v106, v38 dst_sel:DWORD dst_unused:UNUSED_PAD src0_sel:WORD_1 src1_sel:DWORD
	ds_write2_b32 v16, v6, v11 offset0:2 offset1:58
	v_pack_b32_f16 v6, v10, v13
	s_waitcnt vmcnt(5)
	v_lshrrev_b32_e32 v13, 16, v39
	v_mul_f16_sdwa v10, v106, v15 dst_sel:DWORD dst_unused:UNUSED_PAD src0_sel:WORD_1 src1_sel:DWORD
	v_fma_f16 v11, v106, v15, -v20
	s_waitcnt vmcnt(4)
	v_mul_f16_sdwa v15, v105, v39 dst_sel:DWORD dst_unused:UNUSED_PAD src0_sel:WORD_1 src1_sel:DWORD
	ds_write2_b32 v44, v7, v6 offset0:108 offset1:164
	s_waitcnt vmcnt(3)
	v_lshrrev_b32_e32 v6, 16, v40
	s_waitcnt vmcnt(2)
	v_lshrrev_b32_e32 v20, 16, v41
	v_mul_f16_sdwa v7, v105, v13 dst_sel:DWORD dst_unused:UNUSED_PAD src0_sel:WORD_1 src1_sel:DWORD
	v_fma_f16 v13, v105, v13, -v15
	s_waitcnt vmcnt(1)
	v_mul_f16_sdwa v15, v104, v40 dst_sel:DWORD dst_unused:UNUSED_PAD src0_sel:WORD_1 src1_sel:DWORD
	v_mul_f16_sdwa v21, v104, v6 dst_sel:DWORD dst_unused:UNUSED_PAD src0_sel:WORD_1 src1_sel:DWORD
	s_waitcnt vmcnt(0)
	v_mul_f16_sdwa v22, v103, v41 dst_sel:DWORD dst_unused:UNUSED_PAD src0_sel:WORD_1 src1_sel:DWORD
	v_mul_f16_sdwa v23, v103, v20 dst_sel:DWORD dst_unused:UNUSED_PAD src0_sel:WORD_1 src1_sel:DWORD
	v_fmac_f16_e32 v12, v107, v37
	v_fmac_f16_e32 v10, v106, v38
	;; [unrolled: 1-line block ×3, first 2 shown]
	v_fma_f16 v6, v104, v6, -v15
	v_fmac_f16_e32 v21, v104, v40
	v_fma_f16 v15, v103, v20, -v22
	v_fmac_f16_e32 v23, v103, v41
	v_pack_b32_f16 v12, v12, v14
	v_pack_b32_f16 v10, v10, v11
	;; [unrolled: 1-line block ×5, first 2 shown]
	ds_write2_b32 v45, v8, v12 offset0:86 offset1:142
	ds_write2_b32 v19, v9, v10 offset0:80 offset1:136
	ds_write_b32 v102, v7 offset:3528
	ds_write_b32 v102, v6 offset:5488
	;; [unrolled: 1-line block ×3, first 2 shown]
	s_and_saveexec_b32 s2, vcc_lo
	s_cbranch_execz .LBB0_3
; %bb.2:
	v_mad_u64_u32 v[6:7], null, s12, v56, 0
	v_mad_u64_u32 v[0:1], null, 0xfffff190, s12, v[0:1]
	s_mul_i32 s1, s13, 0xfffff190
	s_sub_i32 s1, s1, s12
	v_mad_u64_u32 v[7:8], null, s13, v56, v[7:8]
	v_add_nc_u32_e32 v1, s1, v1
	v_add_co_u32 v8, s1, v0, s14
	v_add_co_ci_u32_e64 v9, s1, s15, v1, s1
	v_lshlrev_b64 v[6:7], 2, v[6:7]
	global_load_dword v10, v[50:51], off offset:1704
	global_load_dword v11, v[0:1], off
	global_load_dword v12, v[8:9], off
	v_add_co_u32 v0, s1, v2, v6
	v_add_co_ci_u32_e64 v1, s1, v3, v7, s1
	v_add_co_u32 v2, s1, v8, s14
	v_add_co_ci_u32_e64 v3, s1, s15, v9, s1
	global_load_dword v6, v[48:49], off offset:1616
	global_load_dword v0, v[0:1], off
	global_load_dword v1, v[2:3], off
	s_clause 0x1
	global_load_dword v2, v[52:53], off offset:1528
	global_load_dword v3, v[54:55], off offset:1792
	s_waitcnt vmcnt(6)
	v_lshrrev_b32_e32 v7, 16, v11
	v_mul_f16_sdwa v8, v10, v11 dst_sel:DWORD dst_unused:UNUSED_PAD src0_sel:WORD_1 src1_sel:DWORD
	s_waitcnt vmcnt(5)
	v_lshrrev_b32_e32 v13, 16, v12
	v_mul_f16_sdwa v9, v10, v7 dst_sel:DWORD dst_unused:UNUSED_PAD src0_sel:WORD_1 src1_sel:DWORD
	v_fma_f16 v7, v10, v7, -v8
	v_fmac_f16_e32 v9, v10, v11
	s_waitcnt vmcnt(4)
	v_mul_f16_sdwa v8, v6, v12 dst_sel:DWORD dst_unused:UNUSED_PAD src0_sel:WORD_1 src1_sel:DWORD
	s_waitcnt vmcnt(3)
	v_lshrrev_b32_e32 v11, 16, v0
	s_waitcnt vmcnt(2)
	v_lshrrev_b32_e32 v14, 16, v1
	v_mul_f16_sdwa v10, v6, v13 dst_sel:DWORD dst_unused:UNUSED_PAD src0_sel:WORD_1 src1_sel:DWORD
	s_waitcnt vmcnt(0)
	v_mul_f16_sdwa v15, v3, v0 dst_sel:DWORD dst_unused:UNUSED_PAD src0_sel:WORD_1 src1_sel:DWORD
	v_fma_f16 v8, v6, v13, -v8
	v_mul_f16_sdwa v20, v3, v11 dst_sel:DWORD dst_unused:UNUSED_PAD src0_sel:WORD_1 src1_sel:DWORD
	v_mul_f16_sdwa v13, v2, v1 dst_sel:DWORD dst_unused:UNUSED_PAD src0_sel:WORD_1 src1_sel:DWORD
	;; [unrolled: 1-line block ×3, first 2 shown]
	v_fmac_f16_e32 v10, v6, v12
	v_fma_f16 v11, v3, v11, -v15
	v_fmac_f16_e32 v20, v3, v0
	v_fma_f16 v6, v2, v14, -v13
	v_fmac_f16_e32 v21, v2, v1
	v_pack_b32_f16 v0, v9, v7
	v_pack_b32_f16 v1, v10, v8
	;; [unrolled: 1-line block ×4, first 2 shown]
	ds_write_b32 v102, v0 offset:3752
	ds_write_b32 v102, v1 offset:5712
	;; [unrolled: 1-line block ×4, first 2 shown]
.LBB0_3:
	s_or_b32 exec_lo, exec_lo, s2
	v_add_nc_u32_e32 v0, 0x600, v102
	v_add_nc_u32_e32 v1, 0xe00, v102
	;; [unrolled: 1-line block ×3, first 2 shown]
	s_waitcnt lgkmcnt(0)
	s_barrier
	buffer_gl0_inv
	ds_read2_b32 v[12:13], v102 offset1:56
	ds_read2_b32 v[14:15], v0 offset0:106 offset1:162
	ds_read2_b32 v[28:29], v1 offset0:84 offset1:140
	;; [unrolled: 1-line block ×4, first 2 shown]
	v_add_nc_u32_e32 v0, 0xa00, v102
	ds_read2_b32 v[10:11], v4 offset0:90 offset1:146
	ds_read2_b32 v[24:25], v18 offset0:68 offset1:124
	;; [unrolled: 1-line block ×6, first 2 shown]
	v_add_nc_u32_e32 v33, 0x1c00, v102
	ds_read2_b32 v[22:23], v17 offset0:158 offset1:214
	ds_read2_b32 v[0:1], v19 offset0:80 offset1:136
	;; [unrolled: 1-line block ×5, first 2 shown]
                                        ; implicit-def: $vgpr32
                                        ; implicit-def: $vgpr34
                                        ; implicit-def: $vgpr33
                                        ; implicit-def: $vgpr35
	s_and_saveexec_b32 s1, vcc_lo
	s_cbranch_execz .LBB0_5
; %bb.4:
	ds_read_b32 v32, v102 offset:1792
	ds_read_b32 v33, v102 offset:3752
	;; [unrolled: 1-line block ×4, first 2 shown]
.LBB0_5:
	s_or_b32 exec_lo, exec_lo, s1
	s_waitcnt lgkmcnt(9)
	v_pk_add_f16 v64, v9, v25 neg_lo:[0,1] neg_hi:[0,1]
	s_waitcnt lgkmcnt(8)
	v_pk_add_f16 v27, v11, v27 neg_lo:[0,1] neg_hi:[0,1]
	;; [unrolled: 2-line block ×4, first 2 shown]
	v_pk_add_f16 v74, v5, v21 neg_lo:[0,1] neg_hi:[0,1]
	v_lshrrev_b32_e32 v20, 16, v64
	v_pk_add_f16 v80, v0, v18 neg_lo:[0,1] neg_hi:[0,1]
	s_waitcnt lgkmcnt(0)
	v_pk_add_f16 v87, v3, v17 neg_lo:[0,1] neg_hi:[0,1]
	v_lshrrev_b32_e32 v18, 16, v84
	v_pk_add_f16 v28, v12, v28 neg_lo:[0,1] neg_hi:[0,1]
	v_add_f16_e32 v71, v20, v27
	v_pk_add_f16 v30, v14, v30 neg_lo:[0,1] neg_hi:[0,1]
	v_pk_add_f16 v57, v8, v24 neg_lo:[0,1] neg_hi:[0,1]
	;; [unrolled: 1-line block ×3, first 2 shown]
	v_add_f16_e32 v92, v18, v87
	v_fma_f16 v76, v20, 2.0, -v71
	v_lshrrev_b32_e32 v20, 16, v74
	v_add_co_u32 v43, s1, v133, 56
	v_add_co_ci_u32_e64 v36, null, 0, 0, s1
	v_add_co_u32 v46, s1, 0x118, v133
	v_add_co_ci_u32_e64 v36, null, 0, 0, s1
	v_add_co_u32 v47, s1, 0x150, v133
	v_lshrrev_b32_e32 v37, 16, v28
	v_pk_add_f16 v29, v13, v29 neg_lo:[0,1] neg_hi:[0,1]
	v_pk_add_f16 v31, v15, v31 neg_lo:[0,1] neg_hi:[0,1]
	;; [unrolled: 1-line block ×3, first 2 shown]
	v_lshrrev_b32_e32 v24, 16, v57
	v_add_f16_e32 v83, v20, v77
	v_pk_add_f16 v17, v33, v35 neg_lo:[0,1] neg_hi:[0,1]
	v_fma_f16 v35, v18, 2.0, -v92
	v_pk_fma_f16 v18, v12, 2.0, v28 op_sel_hi:[1,0,1] neg_lo:[0,0,1] neg_hi:[0,0,1]
	v_pk_fma_f16 v14, v14, 2.0, v30 op_sel_hi:[1,0,1] neg_lo:[0,0,1] neg_hi:[0,0,1]
	v_add_co_ci_u32_e64 v36, null, 0, 0, s1
	v_add_co_u32 v61, s1, 0x188, v133
	v_add_co_ci_u32_e64 v41, null, 0, 0, s1
	v_sub_f16_sdwa v36, v28, v30 dst_sel:DWORD dst_unused:UNUSED_PAD src0_sel:DWORD src1_sel:WORD_1
	v_add_f16_e32 v42, v37, v30
	v_lshrrev_b32_e32 v41, 16, v29
	v_add_f16_e32 v65, v24, v26
	v_pk_add_f16 v69, v6, v22 neg_lo:[0,1] neg_hi:[0,1]
	v_lshrrev_b32_e32 v22, 16, v67
	v_fma_f16 v89, v20, 2.0, -v83
	v_pk_add_f16 v20, v18, v14 neg_lo:[0,1] neg_hi:[0,1]
	v_pk_fma_f16 v13, v13, 2.0, v29 op_sel_hi:[1,0,1] neg_lo:[0,0,1] neg_hi:[0,0,1]
	v_pk_fma_f16 v14, v15, 2.0, v31 op_sel_hi:[1,0,1] neg_lo:[0,0,1] neg_hi:[0,0,1]
	v_fma_f16 v44, v28, 2.0, -v36
	v_sub_f16_sdwa v45, v29, v31 dst_sel:DWORD dst_unused:UNUSED_PAD src0_sel:DWORD src1_sel:WORD_1
	v_add_f16_e32 v59, v41, v31
	v_fma_f16 v37, v37, 2.0, -v42
	v_sub_f16_sdwa v62, v57, v26 dst_sel:DWORD dst_unused:UNUSED_PAD src0_sel:DWORD src1_sel:WORD_1
	v_fma_f16 v70, v24, 2.0, -v65
	v_add_f16_e32 v75, v22, v69
	v_pk_add_f16 v24, v13, v14 neg_lo:[0,1] neg_hi:[0,1]
	v_pk_fma_f16 v8, v8, 2.0, v57 op_sel_hi:[1,0,1] neg_lo:[0,0,1] neg_hi:[0,0,1]
	v_pk_fma_f16 v10, v10, 2.0, v26 op_sel_hi:[1,0,1] neg_lo:[0,0,1] neg_hi:[0,0,1]
	v_add_co_u32 v39, null, 0x70, v133
	v_fma_f16 v60, v29, 2.0, -v45
	v_fma_f16 v63, v41, 2.0, -v59
	;; [unrolled: 1-line block ×3, first 2 shown]
	v_sub_f16_sdwa v68, v64, v27 dst_sel:DWORD dst_unused:UNUSED_PAD src0_sel:DWORD src1_sel:WORD_1
	v_fma_f16 v79, v22, 2.0, -v75
	v_pk_add_f16 v82, v2, v16 neg_lo:[0,1] neg_hi:[0,1]
	v_lshrrev_b32_e32 v16, 16, v80
	v_lshlrev_b32_e32 v15, 4, v133
	v_pk_fma_f16 v18, v18, 2.0, v20 op_sel_hi:[1,0,1] neg_lo:[0,0,1] neg_hi:[0,0,1]
	v_pack_b32_f16 v21, v36, v42
	v_pack_b32_f16 v19, v44, v37
	v_pk_fma_f16 v22, v13, 2.0, v24 op_sel_hi:[1,0,1] neg_lo:[0,0,1] neg_hi:[0,0,1]
	v_pk_add_f16 v10, v8, v10 neg_lo:[0,1] neg_hi:[0,1]
	v_pk_fma_f16 v13, v9, 2.0, v64 op_sel_hi:[1,0,1] neg_lo:[0,0,1] neg_hi:[0,0,1]
	v_pk_fma_f16 v9, v11, 2.0, v27 op_sel_hi:[1,0,1] neg_lo:[0,0,1] neg_hi:[0,0,1]
	s_load_dwordx2 s[2:3], s[4:5], 0x8
	v_add_co_u32 v38, null, 0xa8, v133
	v_fma_f16 v72, v64, 2.0, -v68
	v_add_f16_e32 v88, v16, v82
	s_waitcnt lgkmcnt(0)
	s_barrier
	buffer_gl0_inv
	v_lshlrev_b32_e32 v14, 4, v43
	v_pack_b32_f16 v25, v45, v59
	v_pack_b32_f16 v23, v60, v63
	ds_write_b128 v15, v[18:21]
	v_lshlrev_b32_e32 v15, 4, v39
	v_pk_fma_f16 v8, v8, 2.0, v10 op_sel_hi:[1,0,1] neg_lo:[0,0,1] neg_hi:[0,0,1]
	v_pack_b32_f16 v11, v62, v65
	v_pk_add_f16 v20, v13, v9 neg_lo:[0,1] neg_hi:[0,1]
	v_pack_b32_f16 v9, v66, v70
	v_sub_f16_sdwa v73, v67, v69 dst_sel:DWORD dst_unused:UNUSED_PAD src0_sel:DWORD src1_sel:WORD_1
	v_sub_f16_sdwa v81, v74, v77 dst_sel:DWORD dst_unused:UNUSED_PAD src0_sel:DWORD src1_sel:WORD_1
	;; [unrolled: 1-line block ×3, first 2 shown]
	v_fma_f16 v93, v16, 2.0, -v88
	v_pk_add_f16 v16, v32, v34 neg_lo:[0,1] neg_hi:[0,1]
	buffer_store_dword v14, off, s[20:23], 0 offset:4 ; 4-byte Folded Spill
	ds_write_b128 v14, v[22:25]
	v_lshlrev_b32_e32 v14, 4, v38
	v_pk_fma_f16 v4, v4, 2.0, v67 op_sel_hi:[1,0,1] neg_lo:[0,0,1] neg_hi:[0,0,1]
	v_pk_fma_f16 v6, v6, 2.0, v69 op_sel_hi:[1,0,1] neg_lo:[0,0,1] neg_hi:[0,0,1]
	;; [unrolled: 1-line block ×3, first 2 shown]
	v_pack_b32_f16 v21, v68, v71
	v_pack_b32_f16 v19, v72, v76
	ds_write_b128 v15, v[8:11]
	v_pk_fma_f16 v8, v5, 2.0, v74 op_sel_hi:[1,0,1] neg_lo:[0,0,1] neg_hi:[0,0,1]
	v_pk_fma_f16 v5, v7, 2.0, v77 op_sel_hi:[1,0,1] neg_lo:[0,0,1] neg_hi:[0,0,1]
	;; [unrolled: 1-line block ×4, first 2 shown]
	v_sub_f16_sdwa v86, v80, v82 dst_sel:DWORD dst_unused:UNUSED_PAD src0_sel:DWORD src1_sel:WORD_1
	v_pk_fma_f16 v0, v0, 2.0, v80 op_sel_hi:[1,0,1] neg_lo:[0,0,1] neg_hi:[0,0,1]
	v_pk_fma_f16 v2, v2, 2.0, v82 op_sel_hi:[1,0,1] neg_lo:[0,0,1] neg_hi:[0,0,1]
	v_add_co_u32 v40, null, 0xe0, v133
	v_fma_f16 v78, v67, 2.0, -v73
	v_fma_f16 v85, v74, 2.0, -v81
	;; [unrolled: 1-line block ×3, first 2 shown]
	v_pk_add_f16 v12, v16, v17 op_sel:[0,1] op_sel_hi:[1,0]
	v_pk_add_f16 v6, v4, v6 neg_lo:[0,1] neg_hi:[0,1]
	ds_write_b128 v14, v[18:21]
	v_pk_add_f16 v10, v8, v5 neg_lo:[0,1] neg_hi:[0,1]
	v_pk_add_f16 v20, v13, v1 neg_lo:[0,1] neg_hi:[0,1]
	v_fma_f16 v90, v80, 2.0, -v86
	v_pk_add_f16 v2, v0, v2 neg_lo:[0,1] neg_hi:[0,1]
	v_pk_add_f16 v41, v16, v17 op_sel:[0,1] op_sel_hi:[1,0] neg_lo:[0,1] neg_hi:[0,1]
	buffer_store_dword v15, off, s[20:23], 0 offset:12 ; 4-byte Folded Spill
	buffer_store_dword v14, off, s[20:23], 0 ; 4-byte Folded Spill
	v_lshlrev_b32_e32 v138, 4, v40
	v_pk_fma_f16 v4, v4, 2.0, v6 op_sel_hi:[1,0,1] neg_lo:[0,0,1] neg_hi:[0,0,1]
	v_pack_b32_f16 v7, v73, v75
	v_pack_b32_f16 v5, v78, v79
	v_lshlrev_b32_e32 v14, 4, v46
	v_pk_fma_f16 v8, v8, 2.0, v10 op_sel_hi:[1,0,1] neg_lo:[0,0,1] neg_hi:[0,0,1]
	v_pack_b32_f16 v11, v81, v83
	v_pack_b32_f16 v9, v85, v89
	v_lshlrev_b32_e32 v141, 4, v47
	v_lshlrev_b32_e32 v15, 4, v61
	v_pk_fma_f16 v18, v13, 2.0, v20 op_sel_hi:[1,0,1] neg_lo:[0,0,1] neg_hi:[0,0,1]
	v_pack_b32_f16 v21, v91, v92
	v_pack_b32_f16 v19, v34, v35
	v_lshrrev_b32_e32 v42, 16, v12
	v_pk_fma_f16 v0, v0, 2.0, v2 op_sel_hi:[1,0,1] neg_lo:[0,0,1] neg_hi:[0,0,1]
	v_pack_b32_f16 v3, v86, v88
	v_pack_b32_f16 v1, v90, v93
	ds_write_b128 v138, v[4:7]
	buffer_store_dword v14, off, s[20:23], 0 offset:8 ; 4-byte Folded Spill
	ds_write_b128 v14, v[8:11]
	ds_write_b128 v141, v[0:3]
	buffer_store_dword v15, off, s[20:23], 0 offset:16 ; 4-byte Folded Spill
	ds_write_b128 v15, v[18:21]
	s_and_saveexec_b32 s1, s0
	s_xor_b32 s0, exec_lo, s1
; %bb.6:
                                        ; implicit-def: $vgpr32
                                        ; implicit-def: $vgpr16
                                        ; implicit-def: $vgpr33
                                        ; implicit-def: $vgpr17
                                        ; implicit-def: $vgpr12
; %bb.7:
	s_andn2_saveexec_b32 s0, s0
	s_cbranch_execz .LBB0_9
; %bb.8:
	v_pk_fma_f16 v0, v32, 2.0, v16 op_sel_hi:[1,0,1] neg_lo:[0,0,1] neg_hi:[0,0,1]
	v_pk_fma_f16 v1, v33, 2.0, v17 op_sel_hi:[1,0,1] neg_lo:[0,0,1] neg_hi:[0,0,1]
	v_bfi_b32 v3, 0xffff, v41, v12
	v_lshlrev_b32_e32 v4, 4, v56
	v_pk_add_f16 v2, v0, v1 neg_lo:[0,1] neg_hi:[0,1]
	v_pk_fma_f16 v1, v16, 2.0, v3 op_sel_hi:[1,0,1] neg_lo:[0,0,1] neg_hi:[0,0,1]
	v_pk_fma_f16 v0, v0, 2.0, v2 op_sel_hi:[1,0,1] neg_lo:[0,0,1] neg_hi:[0,0,1]
	ds_write_b128 v4, v[0:3]
.LBB0_9:
	s_or_b32 exec_lo, exec_lo, s0
	v_and_b32_e32 v13, 3, v133
	s_waitcnt lgkmcnt(0)
	s_waitcnt_vscnt null, 0x0
	s_barrier
	buffer_gl0_inv
	v_add_nc_u32_e32 v12, 0x200, v102
	v_mul_u32_u24_e32 v0, 6, v13
	v_add_nc_u32_e32 v16, 0xc00, v102
	v_add_nc_u32_e32 v10, 0x1400, v102
	v_add_nc_u32_e32 v14, 0x800, v102
	v_add_nc_u32_e32 v18, 0x1000, v102
	v_lshlrev_b32_e32 v4, 2, v0
	v_add_nc_u32_e32 v17, 0x1800, v102
	v_add_nc_u32_e32 v11, 0x400, v102
	;; [unrolled: 1-line block ×4, first 2 shown]
	s_clause 0x1
	global_load_dwordx4 v[0:3], v4, s[2:3]
	global_load_dwordx2 v[59:60], v4, s[2:3] offset:16
	ds_read2_b32 v[8:9], v102 offset1:56
	ds_read_b32 v37, v102 offset:7616
	ds_read2_b32 v[4:5], v12 offset0:96 offset1:152
	ds_read2_b32 v[30:31], v14 offset0:48 offset1:104
	;; [unrolled: 1-line block ×10, first 2 shown]
	v_add_nc_u32_e32 v19, 0xe00, v102
	ds_read2_b32 v[70:71], v14 offset0:160 offset1:216
	ds_read2_b32 v[72:73], v15 offset0:80 offset1:136
	ds_read2_b32 v[74:75], v32 offset1:56
	ds_read2_b32 v[76:77], v11 offset0:192 offset1:248
	ds_read2_b32 v[78:79], v19 offset0:112 offset1:168
	;; [unrolled: 1-line block ×3, first 2 shown]
	s_waitcnt vmcnt(0) lgkmcnt(0)
	s_barrier
	buffer_gl0_inv
	v_cmp_gt_u16_e64 s0, 28, v133
	v_lshrrev_b32_e32 v82, 16, v37
	v_lshrrev_b32_e32 v83, 16, v5
	;; [unrolled: 1-line block ×30, first 2 shown]
	v_mul_f16_sdwa v154, v83, v0 dst_sel:DWORD dst_unused:UNUSED_PAD src0_sel:DWORD src1_sel:WORD_1
	v_mul_f16_sdwa v155, v5, v0 dst_sel:DWORD dst_unused:UNUSED_PAD src0_sel:DWORD src1_sel:WORD_1
	;; [unrolled: 1-line block ×29, first 2 shown]
	v_fma_f16 v30, v30, v1, -v156
	v_fma_f16 v31, v31, v1, -v168
	;; [unrolled: 1-line block ×6, first 2 shown]
	v_fmac_f16_e32 v155, v83, v0
	v_fmac_f16_e32 v157, v84, v1
	;; [unrolled: 1-line block ×10, first 2 shown]
	v_fma_f16 v5, v5, v0, -v154
	v_fma_f16 v34, v34, v2, -v158
	;; [unrolled: 1-line block ×4, first 2 shown]
	v_mul_f16_sdwa v179, v65, v0 dst_sel:DWORD dst_unused:UNUSED_PAD src0_sel:DWORD src1_sel:WORD_1
	v_mul_f16_sdwa v181, v70, v1 dst_sel:DWORD dst_unused:UNUSED_PAD src0_sel:DWORD src1_sel:WORD_1
	;; [unrolled: 1-line block ×16, first 2 shown]
	v_fma_f16 v36, v36, v3, -v172
	v_fma_f16 v65, v65, v0, -v178
	;; [unrolled: 1-line block ×3, first 2 shown]
	v_fmac_f16_e32 v171, v91, v2
	v_fmac_f16_e32 v173, v92, v3
	v_fma_f16 v70, v70, v1, -v180
	v_fma_f16 v69, v69, v59, -v186
	;; [unrolled: 1-line block ×3, first 2 shown]
	v_fmac_f16_e32 v24, v82, v60
	v_add_f16_e32 v82, v5, v62
	v_add_f16_e32 v83, v155, v165
	v_sub_f16_e32 v5, v5, v62
	v_sub_f16_e32 v62, v155, v165
	v_add_f16_e32 v84, v30, v45
	v_add_f16_e32 v85, v157, v163
	v_sub_f16_e32 v30, v30, v45
	v_sub_f16_e32 v45, v157, v163
	;; [unrolled: 4-line block ×3, first 2 shown]
	v_add_f16_e32 v88, v64, v63
	v_add_f16_e32 v89, v167, v177
	;; [unrolled: 1-line block ×4, first 2 shown]
	v_mul_f16_sdwa v183, v67, v2 dst_sel:DWORD dst_unused:UNUSED_PAD src0_sel:DWORD src1_sel:WORD_1
	v_mul_f16_sdwa v185, v72, v3 dst_sel:DWORD dst_unused:UNUSED_PAD src0_sel:DWORD src1_sel:WORD_1
	;; [unrolled: 1-line block ×13, first 2 shown]
	v_fma_f16 v67, v67, v2, -v182
	v_fmac_f16_e32 v181, v96, v1
	v_fma_f16 v72, v72, v3, -v184
	v_fmac_f16_e32 v189, v100, v60
	v_fmac_f16_e32 v25, v101, v0
	;; [unrolled: 1-line block ×10, first 2 shown]
	v_sub_f16_e32 v63, v64, v63
	v_sub_f16_e32 v64, v167, v177
	;; [unrolled: 1-line block ×4, first 2 shown]
	v_add_f16_e32 v92, v66, v36
	v_add_f16_e32 v93, v171, v173
	v_sub_f16_e32 v36, v36, v66
	v_sub_f16_e32 v66, v173, v171
	v_add_f16_e32 v94, v65, v74
	v_add_f16_e32 v96, v70, v69
	;; [unrolled: 1-line block ×4, first 2 shown]
	v_sub_f16_e32 v144, v84, v82
	v_sub_f16_e32 v145, v85, v83
	;; [unrolled: 1-line block ×6, first 2 shown]
	v_add_f16_e32 v146, v34, v30
	v_add_f16_e32 v147, v35, v45
	v_sub_f16_e32 v148, v34, v30
	v_sub_f16_e32 v149, v35, v45
	v_sub_f16_e32 v30, v30, v5
	v_sub_f16_e32 v45, v45, v62
	v_add_f16_e32 v150, v90, v88
	v_add_f16_e32 v151, v91, v89
	v_mul_f16_sdwa v200, v152, v3 dst_sel:DWORD dst_unused:UNUSED_PAD src0_sel:DWORD src1_sel:WORD_1
	v_mul_f16_sdwa v201, v153, v59 dst_sel:DWORD dst_unused:UNUSED_PAD src0_sel:DWORD src1_sel:WORD_1
	v_fmac_f16_e32 v185, v98, v3
	v_fmac_f16_e32 v22, v152, v3
	;; [unrolled: 1-line block ×3, first 2 shown]
	v_add_f16_e32 v98, v67, v72
	v_sub_f16_e32 v34, v5, v34
	v_sub_f16_e32 v35, v62, v35
	;; [unrolled: 1-line block ×8, first 2 shown]
	v_add_f16_e32 v154, v36, v31
	v_add_f16_e32 v155, v66, v68
	v_sub_f16_e32 v156, v36, v31
	v_sub_f16_e32 v157, v66, v68
	;; [unrolled: 1-line block ×4, first 2 shown]
	v_add_f16_e32 v158, v96, v94
	v_add_f16_e32 v86, v86, v100
	v_add_f16_e32 v87, v87, v101
	v_add_f16_e32 v5, v146, v5
	v_add_f16_e32 v62, v147, v62
	v_mul_f16_e32 v82, 0x3a52, v82
	v_mul_f16_e32 v83, 0x3a52, v83
	;; [unrolled: 1-line block ×8, first 2 shown]
	v_add_f16_e32 v92, v92, v150
	v_add_f16_e32 v93, v93, v151
	v_fmac_f16_e32 v179, v95, v0
	v_fmac_f16_e32 v183, v97, v2
	;; [unrolled: 1-line block ×3, first 2 shown]
	v_sub_f16_e32 v36, v63, v36
	v_sub_f16_e32 v66, v64, v66
	;; [unrolled: 1-line block ×5, first 2 shown]
	v_add_f16_e32 v63, v154, v63
	v_add_f16_e32 v64, v155, v64
	v_mul_f16_e32 v88, 0x3a52, v88
	v_mul_f16_e32 v89, 0x3a52, v89
	v_mul_f16_e32 v150, 0x2b26, v90
	v_mul_f16_e32 v151, 0x2b26, v91
	v_mul_f16_e32 v154, 0xb846, v156
	v_mul_f16_e32 v155, 0xb846, v157
	v_mul_f16_e32 v156, 0x3b00, v31
	v_mul_f16_e32 v157, 0x3b00, v68
	v_add_f16_e32 v98, v98, v158
	v_add_f16_e32 v158, v8, v86
	v_add_f16_sdwa v8, v8, v87 dst_sel:DWORD dst_unused:UNUSED_PAD src0_sel:WORD_1 src1_sel:DWORD
	v_fmamk_f16 v84, v84, 0x2b26, v82
	v_fmamk_f16 v85, v85, 0x2b26, v83
	v_fma_f16 v100, v144, 0x39e0, -v100
	v_fma_f16 v101, v145, 0x39e0, -v101
	;; [unrolled: 1-line block ×4, first 2 shown]
	v_fmamk_f16 v144, v34, 0x3574, v146
	v_fmamk_f16 v145, v35, 0x3574, v147
	v_fma_f16 v30, v30, 0x3b00, -v146
	v_fma_f16 v45, v45, 0x3b00, -v147
	;; [unrolled: 1-line block ×4, first 2 shown]
	v_add_f16_e32 v147, v9, v92
	v_add_f16_sdwa v9, v9, v93 dst_sel:DWORD dst_unused:UNUSED_PAD src0_sel:WORD_1 src1_sel:DWORD
	v_add_f16_e32 v95, v179, v189
	v_add_f16_e32 v97, v181, v187
	v_sub_f16_e32 v69, v70, v69
	v_sub_f16_e32 v70, v181, v187
	v_add_f16_e32 v99, v183, v185
	v_sub_f16_e32 v67, v72, v67
	v_sub_f16_e32 v72, v185, v183
	v_fmamk_f16 v90, v90, 0x2b26, v88
	v_fmamk_f16 v91, v91, 0x2b26, v89
	v_fma_f16 v146, v152, 0x39e0, -v150
	v_fma_f16 v148, v153, 0x39e0, -v151
	;; [unrolled: 1-line block ×4, first 2 shown]
	v_fmamk_f16 v149, v36, 0x3574, v154
	v_fmamk_f16 v150, v66, 0x3574, v155
	v_fma_f16 v31, v31, 0x3b00, -v154
	v_fma_f16 v68, v68, 0x3b00, -v155
	;; [unrolled: 1-line block ×4, first 2 shown]
	v_fmamk_f16 v86, v86, 0xbcab, v158
	v_fmamk_f16 v87, v87, 0xbcab, v8
	v_fmac_f16_e32 v144, 0x370e, v5
	v_fmac_f16_e32 v145, 0x370e, v62
	;; [unrolled: 1-line block ×6, first 2 shown]
	v_fmamk_f16 v5, v92, 0xbcab, v147
	v_fmamk_f16 v62, v93, 0xbcab, v9
	v_sub_f16_e32 v65, v65, v74
	v_sub_f16_e32 v74, v179, v189
	v_add_f16_e32 v159, v97, v95
	v_sub_f16_e32 v161, v97, v95
	v_sub_f16_e32 v95, v95, v99
	v_add_f16_e32 v162, v67, v69
	v_sub_f16_e32 v165, v72, v70
	v_fmac_f16_e32 v149, 0x370e, v63
	v_fmac_f16_e32 v150, 0x370e, v64
	v_fmac_f16_e32 v31, 0x370e, v63
	v_fmac_f16_e32 v68, 0x370e, v64
	v_fmac_f16_e32 v36, 0x370e, v63
	v_fmac_f16_e32 v66, 0x370e, v64
	v_add_f16_e32 v63, v84, v86
	v_add_f16_e32 v64, v85, v87
	;; [unrolled: 1-line block ×13, first 2 shown]
	v_sub_f16_e32 v164, v67, v69
	v_sub_f16_e32 v67, v65, v67
	;; [unrolled: 1-line block ×4, first 2 shown]
	v_add_f16_e32 v88, v145, v63
	v_add_f16_e32 v92, v35, v82
	v_sub_f16_e32 v93, v83, v34
	v_sub_f16_e32 v100, v84, v45
	v_add_f16_e32 v101, v30, v85
	v_add_f16_e32 v45, v45, v84
	v_sub_f16_e32 v30, v85, v30
	v_sub_f16_e32 v35, v82, v35
	v_add_f16_e32 v34, v34, v83
	v_sub_f16_e32 v82, v63, v145
	v_add_f16_e32 v83, v150, v86
	;; [unrolled: 2-line block ×3, first 2 shown]
	v_sub_f16_e32 v145, v62, v36
	v_sub_f16_e32 v148, v90, v68
	v_add_f16_e32 v68, v68, v90
	v_sub_f16_e32 v5, v5, v66
	v_add_f16_e32 v36, v36, v62
	;; [unrolled: 2-line block ×3, first 2 shown]
	v_add_f16_e32 v62, v162, v65
	v_add_f16_e32 v65, v6, v98
	v_mul_f16_e32 v87, 0x3a52, v95
	v_mul_f16_e32 v90, 0x2b26, v96
	;; [unrolled: 1-line block ×3, first 2 shown]
	v_sub_f16_e32 v97, v99, v97
	v_sub_f16_e32 v72, v74, v72
	v_add_f16_e32 v99, v99, v159
	v_sub_f16_e32 v89, v64, v144
	v_add_f16_e32 v64, v144, v64
	v_add_f16_e32 v63, v163, v74
	v_mul_f16_e32 v74, 0x3a52, v94
	v_mul_f16_e32 v94, 0xb846, v164
	;; [unrolled: 1-line block ×4, first 2 shown]
	v_fmamk_f16 v98, v98, 0xbcab, v65
	v_fma_f16 v90, v160, 0x39e0, -v90
	v_fma_f16 v70, v70, 0x3b00, -v95
	v_fma_f16 v76, v76, v0, -v190
	v_fma_f16 v71, v71, v1, -v191
	v_fma_f16 v80, v80, v59, -v194
	v_fma_f16 v75, v75, v60, -v195
	v_add_f16_e32 v151, v31, v91
	v_sub_f16_e32 v31, v91, v31
	v_add_f16_sdwa v6, v6, v99 dst_sel:DWORD dst_unused:UNUSED_PAD src0_sel:WORD_1 src1_sel:DWORD
	v_mul_f16_e32 v91, 0x2b26, v97
	v_fmamk_f16 v149, v67, 0x3574, v94
	v_fmamk_f16 v150, v72, 0x3574, v95
	v_fma_f16 v69, v69, 0x3b00, -v94
	v_fma_f16 v67, v67, 0xb574, -v144
	;; [unrolled: 1-line block ×3, first 2 shown]
	v_add_f16_e32 v90, v90, v98
	v_fmac_f16_e32 v70, 0x370e, v63
	v_fma_f16 v78, v78, v2, -v192
	v_fma_f16 v73, v73, v3, -v193
	v_fmamk_f16 v99, v99, 0xbcab, v6
	v_fmamk_f16 v96, v96, 0x2b26, v74
	;; [unrolled: 1-line block ×3, first 2 shown]
	v_fma_f16 v91, v161, 0x39e0, -v91
	v_fma_f16 v74, v160, 0xb9e0, -v74
	;; [unrolled: 1-line block ×3, first 2 shown]
	v_fmac_f16_e32 v149, 0x370e, v62
	v_fmac_f16_e32 v150, 0x370e, v63
	v_fmac_f16_e32 v69, 0x370e, v62
	v_fmac_f16_e32 v72, 0x370e, v63
	v_fmac_f16_e32 v67, 0x370e, v62
	v_sub_f16_e32 v152, v90, v70
	v_add_f16_e32 v70, v70, v90
	v_add_f16_e32 v62, v76, v75
	;; [unrolled: 1-line block ×3, first 2 shown]
	v_sub_f16_e32 v75, v76, v75
	v_add_f16_e32 v76, v71, v80
	v_add_f16_e32 v90, v26, v29
	;; [unrolled: 1-line block ×7, first 2 shown]
	v_sub_f16_e32 v25, v25, v196
	v_sub_f16_e32 v71, v71, v80
	;; [unrolled: 1-line block ×3, first 2 shown]
	v_add_f16_e32 v29, v78, v73
	v_add_f16_e32 v80, v27, v28
	v_sub_f16_e32 v73, v73, v78
	v_sub_f16_e32 v27, v28, v27
	v_add_f16_e32 v28, v76, v62
	v_add_f16_e32 v78, v90, v63
	;; [unrolled: 1-line block ×3, first 2 shown]
	v_sub_f16_e32 v97, v95, v149
	v_add_f16_e32 v98, v72, v74
	v_sub_f16_e32 v99, v87, v67
	v_add_f16_e32 v153, v69, v91
	v_sub_f16_e32 v69, v91, v69
	v_sub_f16_e32 v72, v74, v72
	v_add_f16_e32 v67, v67, v87
	v_sub_f16_e32 v74, v94, v150
	v_add_f16_e32 v87, v149, v95
	v_sub_f16_e32 v91, v76, v62
	v_sub_f16_e32 v94, v90, v63
	;; [unrolled: 1-line block ×6, first 2 shown]
	v_add_f16_e32 v95, v73, v71
	v_add_f16_e32 v144, v27, v26
	v_sub_f16_e32 v146, v73, v71
	v_sub_f16_e32 v149, v27, v26
	;; [unrolled: 1-line block ×3, first 2 shown]
	v_add_f16_e32 v28, v29, v28
	v_add_f16_e32 v29, v80, v78
	v_sub_f16_e32 v26, v26, v25
	v_sub_f16_e32 v73, v75, v73
	;; [unrolled: 1-line block ×3, first 2 shown]
	v_add_f16_e32 v75, v95, v75
	v_add_f16_e32 v25, v144, v25
	;; [unrolled: 1-line block ×3, first 2 shown]
	v_add_f16_sdwa v7, v7, v29 dst_sel:DWORD dst_unused:UNUSED_PAD src0_sel:WORD_1 src1_sel:DWORD
	v_mul_f16_e32 v62, 0x3a52, v62
	v_mul_f16_e32 v63, 0x3a52, v63
	;; [unrolled: 1-line block ×8, first 2 shown]
	v_fma_f16 v77, v77, v0, -v197
	v_fma_f16 v33, v33, v1, -v198
	;; [unrolled: 1-line block ×4, first 2 shown]
	v_fmamk_f16 v28, v28, 0xbcab, v78
	v_fmamk_f16 v29, v29, 0xbcab, v7
	;; [unrolled: 1-line block ×4, first 2 shown]
	v_fma_f16 v80, v91, 0x39e0, -v80
	v_fma_f16 v95, v94, 0x39e0, -v95
	;; [unrolled: 1-line block ×4, first 2 shown]
	v_fmamk_f16 v91, v73, 0x3574, v144
	v_fmamk_f16 v94, v27, 0x3574, v146
	v_fma_f16 v73, v73, 0xb574, -v149
	v_fma_f16 v27, v27, 0xb574, -v150
	;; [unrolled: 1-line block ×5, first 2 shown]
	v_add_f16_e32 v76, v76, v28
	v_add_f16_e32 v90, v90, v29
	;; [unrolled: 1-line block ×6, first 2 shown]
	v_fmac_f16_e32 v94, 0x370e, v25
	v_fmac_f16_e32 v27, 0x370e, v25
	;; [unrolled: 1-line block ×3, first 2 shown]
	v_add_f16_e32 v62, v77, v37
	v_add_f16_e32 v63, v19, v24
	v_sub_f16_e32 v19, v19, v24
	v_add_f16_e32 v24, v33, v81
	v_fma_f16 v71, v71, 0x3b00, -v144
	v_fmac_f16_e32 v26, 0x370e, v25
	v_add_f16_e32 v25, v94, v76
	v_add_f16_e32 v149, v27, v28
	v_sub_f16_e32 v150, v29, v73
	v_sub_f16_e32 v27, v28, v27
	v_add_f16_e32 v28, v73, v29
	v_sub_f16_e32 v29, v76, v94
	v_sub_f16_e32 v37, v77, v37
	v_add_f16_e32 v76, v20, v23
	v_sub_f16_e32 v20, v20, v23
	v_add_f16_e32 v23, v79, v44
	v_add_f16_e32 v77, v21, v22
	v_sub_f16_e32 v21, v22, v21
	v_add_f16_e32 v22, v24, v62
	v_fmac_f16_e32 v91, 0x370e, v75
	v_fmac_f16_e32 v71, 0x370e, v75
	v_sub_f16_e32 v154, v80, v26
	v_add_f16_e32 v26, v26, v80
	v_sub_f16_e32 v33, v33, v81
	v_sub_f16_e32 v44, v44, v79
	v_add_f16_e32 v79, v76, v63
	v_sub_f16_e32 v80, v24, v62
	v_sub_f16_e32 v62, v62, v23
	v_sub_f16_e32 v24, v23, v24
	v_add_f16_e32 v22, v23, v22
	v_sub_f16_e32 v75, v90, v91
	v_add_f16_e32 v155, v71, v95
	v_sub_f16_e32 v71, v95, v71
	v_add_f16_e32 v73, v91, v90
	v_sub_f16_e32 v81, v76, v63
	v_sub_f16_e32 v63, v63, v77
	v_sub_f16_e32 v76, v77, v76
	v_add_f16_e32 v90, v44, v33
	v_add_f16_e32 v91, v21, v20
	v_sub_f16_e32 v94, v44, v33
	v_sub_f16_e32 v95, v21, v20
	;; [unrolled: 1-line block ×3, first 2 shown]
	v_add_f16_e32 v23, v77, v79
	v_sub_f16_e32 v20, v20, v19
	v_add_f16_e32 v77, v4, v22
	v_mul_f16_e32 v62, 0x3a52, v62
	v_mul_f16_e32 v79, 0x2b26, v24
	v_sub_f16_e32 v44, v37, v44
	v_sub_f16_e32 v21, v19, v21
	v_add_f16_e32 v37, v90, v37
	v_add_f16_e32 v19, v91, v19
	v_add_f16_sdwa v4, v4, v23 dst_sel:DWORD dst_unused:UNUSED_PAD src0_sel:WORD_1 src1_sel:DWORD
	v_mul_f16_e32 v63, 0x3a52, v63
	v_mul_f16_e32 v90, 0x2b26, v76
	;; [unrolled: 1-line block ×6, first 2 shown]
	v_fmamk_f16 v22, v22, 0xbcab, v77
	v_fmamk_f16 v24, v24, 0x2b26, v62
	v_fma_f16 v79, v80, 0x39e0, -v79
	v_fma_f16 v62, v80, 0xb9e0, -v62
	v_fmamk_f16 v23, v23, 0xbcab, v4
	v_fmamk_f16 v76, v76, 0x2b26, v63
	v_fma_f16 v90, v81, 0x39e0, -v90
	v_fma_f16 v63, v81, 0xb9e0, -v63
	;; [unrolled: 4-line block ×3, first 2 shown]
	v_add_f16_e32 v24, v24, v22
	v_add_f16_e32 v79, v79, v22
	;; [unrolled: 1-line block ×3, first 2 shown]
	v_lshrrev_b32_e32 v62, 2, v133
	v_add_f16_e32 v76, v76, v23
	v_add_f16_e32 v90, v90, v23
	;; [unrolled: 1-line block ×3, first 2 shown]
	v_fmac_f16_e32 v21, 0x370e, v19
	v_fmac_f16_e32 v44, 0x370e, v37
	v_mul_u32_u24_e32 v62, 28, v62
	v_fma_f16 v33, v33, 0x3b00, -v91
	v_fma_f16 v20, v20, 0x3b00, -v94
	v_add_f16_e32 v91, v21, v22
	v_sub_f16_e32 v94, v23, v44
	v_sub_f16_e32 v21, v22, v21
	v_add_f16_e32 v22, v44, v23
	v_or_b32_e32 v23, v62, v13
	v_fmac_f16_e32 v81, 0x370e, v19
	v_fmac_f16_e32 v20, 0x370e, v19
	v_pack_b32_f16 v8, v158, v8
	v_fmac_f16_e32 v80, 0x370e, v37
	v_lshlrev_b32_e32 v144, 2, v23
	v_lshrrev_b32_e32 v23, 2, v43
	v_add_f16_e32 v19, v81, v24
	v_sub_f16_e32 v62, v24, v81
	v_pack_b32_f16 v24, v88, v89
	v_fmac_f16_e32 v33, 0x370e, v37
	v_mul_u32_u24_e32 v23, 28, v23
	v_sub_f16_e32 v37, v76, v80
	v_add_f16_e32 v63, v80, v76
	ds_write2_b32 v144, v8, v24 offset1:4
	v_pack_b32_f16 v44, v92, v93
	v_or_b32_e32 v8, v23, v13
	v_pack_b32_f16 v76, v100, v101
	v_lshrrev_b32_e32 v24, 2, v39
	v_pack_b32_f16 v30, v45, v30
	v_pack_b32_f16 v34, v35, v34
	;; [unrolled: 1-line block ×3, first 2 shown]
	v_lshlrev_b32_e32 v146, 2, v8
	v_pack_b32_f16 v8, v147, v9
	v_pack_b32_f16 v9, v83, v84
	ds_write2_b32 v144, v44, v76 offset0:8 offset1:12
	ds_write2_b32 v144, v30, v34 offset0:16 offset1:20
	v_pack_b32_f16 v30, v85, v145
	v_mul_u32_u24_e32 v24, 28, v24
	v_pack_b32_f16 v34, v148, v151
	v_pack_b32_f16 v31, v68, v31
	;; [unrolled: 1-line block ×3, first 2 shown]
	ds_write_b32 v144, v23 offset:96
	ds_write2_b32 v146, v8, v9 offset1:4
	ds_write2_b32 v146, v30, v34 offset0:8 offset1:12
	ds_write2_b32 v146, v31, v5 offset0:16 offset1:20
	v_lshrrev_b32_e32 v8, 2, v38
	v_or_b32_e32 v23, v24, v13
	v_pack_b32_f16 v5, v66, v86
	v_pack_b32_f16 v6, v65, v6
	;; [unrolled: 1-line block ×3, first 2 shown]
	v_mul_u32_u24_e32 v8, 28, v8
	v_lshlrev_b32_e32 v145, 2, v23
	ds_write_b32 v146, v5 offset:96
	ds_write2_b32 v145, v6, v9 offset1:4
	v_or_b32_e32 v5, v8, v13
	v_lshrrev_b32_e32 v8, 2, v40
	v_pack_b32_f16 v23, v98, v99
	v_pack_b32_f16 v24, v152, v153
	;; [unrolled: 1-line block ×4, first 2 shown]
	v_mul_u32_u24_e32 v8, 28, v8
	v_pack_b32_f16 v31, v72, v67
	v_lshlrev_b32_e32 v147, 2, v5
	v_pack_b32_f16 v5, v78, v7
	v_pack_b32_f16 v7, v25, v75
	ds_write2_b32 v145, v23, v24 offset0:8 offset1:12
	ds_write2_b32 v145, v30, v31 offset0:16 offset1:20
	v_pack_b32_f16 v9, v149, v150
	v_pack_b32_f16 v23, v154, v155
	ds_write_b32 v145, v6 offset:96
	v_or_b32_e32 v6, v8, v13
	v_sub_f16_e32 v95, v79, v20
	v_add_f16_e32 v156, v33, v90
	v_pack_b32_f16 v24, v26, v71
	v_pack_b32_f16 v25, v27, v28
	v_add_f16_e32 v20, v20, v79
	v_sub_f16_e32 v33, v90, v33
	ds_write2_b32 v147, v5, v7 offset1:4
	ds_write2_b32 v147, v9, v23 offset0:8 offset1:12
	ds_write2_b32 v147, v24, v25 offset0:16 offset1:20
	v_pack_b32_f16 v5, v29, v73
	v_lshlrev_b32_e32 v148, 2, v6
	v_pack_b32_f16 v4, v77, v4
	v_pack_b32_f16 v6, v19, v37
	;; [unrolled: 1-line block ×7, first 2 shown]
	ds_write_b32 v147, v5 offset:96
	ds_write2_b32 v148, v4, v6 offset1:4
	ds_write2_b32 v148, v7, v8 offset0:8 offset1:12
	ds_write2_b32 v148, v9, v13 offset0:16 offset1:20
	ds_write_b32 v148, v19 offset:96
	s_waitcnt lgkmcnt(0)
	s_barrier
	buffer_gl0_inv
	ds_read2_b32 v[4:5], v102 offset1:56
	ds_read2_b32 v[8:9], v16 offset0:128 offset1:212
	ds_read2_b32 v[22:23], v18 offset0:12 offset1:68
	;; [unrolled: 1-line block ×5, first 2 shown]
	v_add_nc_u32_e32 v12, 0x1600, v102
	ds_read2_b32 v[34:35], v15 offset0:108 offset1:164
	ds_read2_b32 v[20:21], v11 offset0:80 offset1:136
	ds_read2_b32 v[36:37], v10 offset0:92 offset1:148
	ds_read2_b32 v[10:11], v11 offset0:192 offset1:248
	ds_read2_b32 v[26:27], v12 offset0:76 offset1:132
	ds_read2_b32 v[12:13], v14 offset0:48 offset1:104
	ds_read2_b32 v[28:29], v17 offset0:60 offset1:116
	ds_read2_b32 v[14:15], v14 offset0:160 offset1:216
	ds_read2_b32 v[30:31], v17 offset0:172 offset1:228
	ds_read2_b32 v[16:17], v16 offset0:16 offset1:72
	ds_read2_b32 v[32:33], v32 offset0:28 offset1:84
	v_lshlrev_b32_e32 v71, 2, v133
	v_lshlrev_b32_e32 v44, 2, v43
	;; [unrolled: 1-line block ×5, first 2 shown]
	s_and_saveexec_b32 s1, s0
	s_cbranch_execz .LBB0_11
; %bb.10:
	ds_read_b32 v62, v102 offset:3808
	ds_read_b32 v41, v102 offset:7728
	s_waitcnt lgkmcnt(1)
	v_lshrrev_b32_e32 v63, 16, v62
	s_waitcnt lgkmcnt(0)
	v_lshrrev_b32_e32 v42, 16, v41
.LBB0_11:
	s_or_b32 exec_lo, exec_lo, s1
	v_add_co_u32 v66, s1, 0xffffffe4, v133
	v_lshrrev_b16 v64, 2, v39
	v_lshrrev_b16 v65, 2, v38
	v_add_co_ci_u32_e64 v67, null, 0, -1, s1
	v_cndmask_b32_e64 v76, v66, v133, s0
	v_and_b32_e32 v64, 63, v64
	v_and_b32_e32 v65, 63, v65
	v_cndmask_b32_e64 v77, v67, 0, s0
	v_lshrrev_b16 v68, 2, v40
	v_mov_b32_e32 v73, 0x4925
	v_mul_lo_u16 v66, v64, 37
	v_mul_lo_u16 v67, v65, 37
	v_lshlrev_b64 v[64:65], 2, v[76:77]
	v_add_nc_u16 v95, v133, 0x2d8
	v_mul_u32_u24_sdwa v68, v68, v73 dst_sel:DWORD dst_unused:UNUSED_PAD src0_sel:WORD_0 src1_sel:DWORD
	v_lshrrev_b16 v78, 8, v66
	v_lshrrev_b16 v79, 8, v67
	;; [unrolled: 1-line block ×3, first 2 shown]
	v_add_co_u32 v64, s1, s2, v64
	v_add_co_ci_u32_e64 v65, s1, s3, v65, s1
	v_add_nc_u16 v67, v133, 0x1f8
	v_lshrrev_b32_e32 v80, 17, v68
	v_lshrrev_b16 v68, 2, v56
	global_load_dword v151, v[64:65], off offset:96
	v_lshrrev_b16 v64, 2, v46
	v_lshrrev_b16 v65, 2, v47
	v_mul_u32_u24_sdwa v66, v66, v73 dst_sel:DWORD dst_unused:UNUSED_PAD src0_sel:WORD_0 src1_sel:DWORD
	v_lshrrev_b16 v74, 2, v67
	v_add_nc_u16 v97, v133, 0x310
	v_mul_u32_u24_sdwa v64, v64, v73 dst_sel:DWORD dst_unused:UNUSED_PAD src0_sel:WORD_0 src1_sel:DWORD
	v_mul_u32_u24_sdwa v65, v65, v73 dst_sel:DWORD dst_unused:UNUSED_PAD src0_sel:WORD_0 src1_sel:DWORD
	v_lshrrev_b32_e32 v87, 17, v66
	v_add_nc_u16 v66, v133, 0x230
	v_lshrrev_b16 v45, 2, v43
	v_lshrrev_b32_e32 v85, 17, v64
	v_lshrrev_b32_e32 v86, 17, v65
	v_mul_u32_u24_sdwa v64, v68, v73 dst_sel:DWORD dst_unused:UNUSED_PAD src0_sel:WORD_0 src1_sel:DWORD
	v_mul_u32_u24_sdwa v65, v74, v73 dst_sel:DWORD dst_unused:UNUSED_PAD src0_sel:WORD_0 src1_sel:DWORD
	v_add_nc_u16 v68, v133, 0x268
	v_add_nc_u16 v74, v133, 0x2a0
	v_and_b32_e32 v45, 63, v45
	v_lshrrev_b32_e32 v88, 17, v64
	v_lshrrev_b32_e32 v89, 17, v65
	v_lshrrev_b16 v64, 2, v66
	v_lshrrev_b16 v65, 2, v68
	;; [unrolled: 1-line block ×3, first 2 shown]
	v_mul_lo_u16 v75, v88, 28
	v_mul_lo_u16 v91, v89, 28
	v_mul_u32_u24_sdwa v64, v64, v73 dst_sel:DWORD dst_unused:UNUSED_PAD src0_sel:WORD_0 src1_sel:DWORD
	v_mul_u32_u24_sdwa v65, v65, v73 dst_sel:DWORD dst_unused:UNUSED_PAD src0_sel:WORD_0 src1_sel:DWORD
	v_add_nc_u16 v101, v133, 0x348
	v_sub_nc_u16 v92, v56, v75
	v_mul_u32_u24_sdwa v75, v90, v73 dst_sel:DWORD dst_unused:UNUSED_PAD src0_sel:WORD_0 src1_sel:DWORD
	v_sub_nc_u16 v90, v67, v91
	v_lshrrev_b32_e32 v91, 17, v64
	v_lshrrev_b32_e32 v93, 17, v65
	v_mul_lo_u16 v45, v45, 37
	v_lshrrev_b32_e32 v64, 17, v75
	v_or_b32_e32 v149, 0x380, v133
	v_mul_lo_u16 v65, v91, 28
	v_mul_lo_u16 v67, v93, 28
	v_add_nc_u16 v150, v133, 0x3b8
	v_lshrrev_b16 v77, 8, v45
	v_mul_lo_u16 v45, v80, 28
	v_sub_nc_u16 v98, v66, v65
	v_lshrrev_b16 v66, 2, v95
	v_sub_nc_u16 v99, v68, v67
	v_lshrrev_b16 v67, 2, v97
	v_lshrrev_b16 v68, 2, v101
	v_mul_lo_u16 v96, v64, 28
	v_mul_u32_u24_sdwa v66, v66, v73 dst_sel:DWORD dst_unused:UNUSED_PAD src0_sel:WORD_0 src1_sel:DWORD
	v_lshrrev_b16 v152, 2, v149
	v_mul_u32_u24_sdwa v67, v67, v73 dst_sel:DWORD dst_unused:UNUSED_PAD src0_sel:WORD_0 src1_sel:DWORD
	v_lshrrev_b16 v154, 2, v150
	v_mul_u32_u24_sdwa v156, v68, v73 dst_sel:DWORD dst_unused:UNUSED_PAD src0_sel:WORD_0 src1_sel:DWORD
	v_lshrrev_b32_e32 v66, 17, v66
	v_sub_nc_u16 v84, v40, v45
	v_lshrrev_b32_e32 v67, 17, v67
	v_mov_b32_e32 v45, 2
	v_sub_nc_u16 v65, v74, v96
	v_mul_lo_u16 v153, v66, 28
	v_mul_u32_u24_sdwa v152, v152, v73 dst_sel:DWORD dst_unused:UNUSED_PAD src0_sel:WORD_0 src1_sel:DWORD
	v_mul_lo_u16 v155, v67, 28
	v_lshlrev_b32_sdwa v94, v45, v92 dst_sel:DWORD dst_unused:UNUSED_PAD src0_sel:DWORD src1_sel:WORD_0
	v_lshlrev_b32_sdwa v100, v45, v65 dst_sel:DWORD dst_unused:UNUSED_PAD src0_sel:DWORD src1_sel:WORD_0
	v_sub_nc_u16 v68, v95, v153
	v_mul_lo_u16 v95, v85, 28
	v_mul_u32_u24_sdwa v153, v154, v73 dst_sel:DWORD dst_unused:UNUSED_PAD src0_sel:WORD_0 src1_sel:DWORD
	v_mul_lo_u16 v154, v86, 28
	v_sub_nc_u16 v73, v97, v155
	v_mul_lo_u16 v97, v87, 28
	v_sub_nc_u16 v95, v46, v95
	v_lshlrev_b32_sdwa v74, v45, v98 dst_sel:DWORD dst_unused:UNUSED_PAD src0_sel:DWORD src1_sel:WORD_0
	v_sub_nc_u16 v162, v47, v154
	v_lshlrev_b32_sdwa v47, v45, v84 dst_sel:DWORD dst_unused:UNUSED_PAD src0_sel:DWORD src1_sel:WORD_0
	;; [unrolled: 2-line block ×3, first 2 shown]
	v_lshrrev_b32_e32 v46, 17, v156
	s_clause 0x3
	global_load_dword v158, v94, s[2:3] offset:96
	global_load_dword v156, v100, s[2:3] offset:96
	global_load_dword v171, v47, s[2:3] offset:96
	global_load_dword v172, v61, s[2:3] offset:96
	v_lshlrev_b32_sdwa v94, v45, v162 dst_sel:DWORD dst_unused:UNUSED_PAD src0_sel:DWORD src1_sel:WORD_0
	v_lshlrev_b32_sdwa v47, v45, v97 dst_sel:DWORD dst_unused:UNUSED_PAD src0_sel:DWORD src1_sel:WORD_0
	v_lshrrev_b32_e32 v61, 17, v152
	global_load_dword v160, v74, s[2:3] offset:96
	v_mul_lo_u16 v81, v77, 28
	global_load_dword v165, v94, s[2:3] offset:96
	v_lshrrev_b32_e32 v94, 17, v153
	global_load_dword v164, v47, s[2:3] offset:96
	v_mul_lo_u16 v82, v78, 28
	v_lshlrev_b32_sdwa v75, v45, v90 dst_sel:DWORD dst_unused:UNUSED_PAD src0_sel:DWORD src1_sel:WORD_0
	v_lshlrev_b32_sdwa v96, v45, v99 dst_sel:DWORD dst_unused:UNUSED_PAD src0_sel:DWORD src1_sel:WORD_0
	;; [unrolled: 1-line block ×3, first 2 shown]
	v_mul_lo_u16 v152, v46, 28
	v_lshlrev_b32_sdwa v153, v45, v73 dst_sel:DWORD dst_unused:UNUSED_PAD src0_sel:DWORD src1_sel:WORD_0
	v_mul_lo_u16 v154, v61, 28
	v_mul_lo_u16 v94, v94, 28
	;; [unrolled: 1-line block ×3, first 2 shown]
	v_sub_nc_u16 v43, v43, v81
	s_clause 0x2
	global_load_dword v159, v75, s[2:3] offset:96
	global_load_dword v157, v96, s[2:3] offset:96
	;; [unrolled: 1-line block ×3, first 2 shown]
	v_sub_nc_u16 v74, v149, v154
	v_sub_nc_u16 v149, v150, v94
	global_load_dword v155, v47, s[2:3] offset:96
	v_sub_nc_u16 v75, v101, v152
	v_sub_nc_u16 v81, v39, v82
	;; [unrolled: 1-line block ×3, first 2 shown]
	v_and_b32_e32 v43, 0xff, v43
	v_lshlrev_b32_sdwa v96, v45, v74 dst_sel:DWORD dst_unused:UNUSED_PAD src0_sel:DWORD src1_sel:WORD_0
	v_lshlrev_b32_sdwa v94, v45, v75 dst_sel:DWORD dst_unused:UNUSED_PAD src0_sel:DWORD src1_sel:WORD_0
	;; [unrolled: 1-line block ×3, first 2 shown]
	v_and_b32_e32 v81, 0xff, v81
	v_and_b32_e32 v82, 0xff, v82
	v_lshlrev_b32_e32 v83, 2, v43
	s_clause 0x2
	global_load_dword v154, v94, s[2:3] offset:96
	global_load_dword v152, v96, s[2:3] offset:96
	;; [unrolled: 1-line block ×3, first 2 shown]
	v_lshlrev_b32_e32 v94, 2, v81
	v_lshlrev_b32_e32 v96, 2, v82
	s_clause 0x2
	global_load_dword v179, v83, s[2:3] offset:96
	global_load_dword v178, v94, s[2:3] offset:96
	;; [unrolled: 1-line block ×3, first 2 shown]
	v_cmp_lt_u16_e64 s1, 27, v133
	v_mov_b32_e32 v163, 56
	s_waitcnt lgkmcnt(15)
	v_lshrrev_b32_e32 v94, 16, v9
	v_lshrrev_b32_e32 v83, 16, v4
	s_waitcnt lgkmcnt(12)
	v_lshrrev_b32_e32 v184, 16, v25
	v_cndmask_b32_e64 v161, 0, 56, s1
	s_waitcnt lgkmcnt(10)
	v_lshrrev_b32_e32 v186, 16, v34
	s_waitcnt lgkmcnt(8)
	v_lshrrev_b32_e32 v192, 16, v37
	v_lshrrev_b32_e32 v188, 16, v35
	;; [unrolled: 1-line block ×3, first 2 shown]
	v_add_lshl_u32 v57, v76, v161, 2
	v_mul_u32_u24_sdwa v76, v77, v163 dst_sel:DWORD dst_unused:UNUSED_PAD src0_sel:WORD_0 src1_sel:DWORD
	v_mul_u32_u24_sdwa v77, v78, v163 dst_sel:DWORD dst_unused:UNUSED_PAD src0_sel:WORD_0 src1_sel:DWORD
	;; [unrolled: 1-line block ×3, first 2 shown]
	v_mad_u16 v79, v80, 56, v84
	v_mad_u16 v80, v85, 56, v95
	v_add_lshl_u32 v176, v76, v43, 2
	v_mad_u16 v84, v86, 56, v162
	v_mad_u16 v85, v87, 56, v97
	v_lshlrev_b32_sdwa v139, v45, v79 dst_sel:DWORD dst_unused:UNUSED_PAD src0_sel:DWORD src1_sel:WORD_0
	v_lshlrev_b32_sdwa v140, v45, v80 dst_sel:DWORD dst_unused:UNUSED_PAD src0_sel:DWORD src1_sel:WORD_0
	v_mad_u16 v79, v89, 56, v90
	v_mad_u16 v80, v91, 56, v98
	v_lshrrev_b32_e32 v100, 16, v22
	s_waitcnt lgkmcnt(6)
	v_lshrrev_b32_e32 v194, 16, v26
	v_mad_u16 v86, v88, 56, v92
	v_lshlrev_b32_sdwa v142, v45, v84 dst_sel:DWORD dst_unused:UNUSED_PAD src0_sel:DWORD src1_sel:WORD_0
	v_mad_u16 v84, v93, 56, v99
	v_add_lshl_u32 v175, v78, v82, 2
	v_lshlrev_b32_sdwa v143, v45, v79 dst_sel:DWORD dst_unused:UNUSED_PAD src0_sel:DWORD src1_sel:WORD_0
	v_lshlrev_b32_sdwa v170, v45, v80 dst_sel:DWORD dst_unused:UNUSED_PAD src0_sel:DWORD src1_sel:WORD_0
	v_lshrrev_b32_e32 v180, 16, v23
	v_lshrrev_b32_e32 v196, 16, v27
	v_add_lshl_u32 v174, v77, v81, 2
	v_lshrrev_b32_e32 v182, 16, v24
	s_waitcnt lgkmcnt(4)
	v_lshrrev_b32_e32 v198, 16, v28
	v_lshlrev_b32_sdwa v136, v45, v85 dst_sel:DWORD dst_unused:UNUSED_PAD src0_sel:DWORD src1_sel:WORD_0
	v_lshrrev_b32_e32 v183, 16, v18
	v_lshlrev_b32_sdwa v137, v45, v86 dst_sel:DWORD dst_unused:UNUSED_PAD src0_sel:DWORD src1_sel:WORD_0
	v_lshlrev_b32_sdwa v173, v45, v84 dst_sel:DWORD dst_unused:UNUSED_PAD src0_sel:DWORD src1_sel:WORD_0
	v_lshrrev_b32_e32 v185, 16, v19
	v_lshrrev_b32_e32 v191, 16, v10
	;; [unrolled: 1-line block ×9, first 2 shown]
	s_waitcnt lgkmcnt(2)
	v_lshrrev_b32_e32 v202, 16, v30
	v_lshrrev_b32_e32 v181, 16, v7
	;; [unrolled: 1-line block ×4, first 2 shown]
	s_waitcnt lgkmcnt(0)
	v_lshrrev_b32_e32 v206, 16, v32
	v_lshrrev_b32_e32 v208, 16, v33
	s_waitcnt vmcnt(0)
	s_barrier
	buffer_gl0_inv
	v_lshrrev_b32_e32 v199, 16, v14
	v_lshrrev_b32_e32 v201, 16, v15
	;; [unrolled: 1-line block ×5, first 2 shown]
	buffer_store_dword v57, off, s[20:23], 0 offset:20 ; 4-byte Folded Spill
	v_mul_f16_sdwa v43, v94, v151 dst_sel:DWORD dst_unused:UNUSED_PAD src0_sel:DWORD src1_sel:WORD_1
	v_mul_f16_sdwa v76, v9, v151 dst_sel:DWORD dst_unused:UNUSED_PAD src0_sel:DWORD src1_sel:WORD_1
	v_fma_f16 v9, v9, v151, -v43
	v_fmac_f16_e32 v76, v94, v151
	v_sub_f16_e32 v9, v4, v9
	v_sub_f16_e32 v76, v83, v76
	v_fma_f16 v4, v4, 2.0, -v9
	v_pack_b32_f16 v9, v9, v76
	v_mul_f16_sdwa v43, v192, v158 dst_sel:DWORD dst_unused:UNUSED_PAD src0_sel:DWORD src1_sel:WORD_1
	v_mul_f16_sdwa v77, v37, v158 dst_sel:DWORD dst_unused:UNUSED_PAD src0_sel:DWORD src1_sel:WORD_1
	;; [unrolled: 1-line block ×6, first 2 shown]
	v_fma_f16 v37, v37, v158, -v43
	v_fma_f16 v25, v25, v171, -v78
	v_fmac_f16_e32 v79, v184, v171
	v_mul_f16_sdwa v82, v188, v165 dst_sel:DWORD dst_unused:UNUSED_PAD src0_sel:DWORD src1_sel:WORD_1
	v_mul_f16_sdwa v84, v35, v165 dst_sel:DWORD dst_unused:UNUSED_PAD src0_sel:DWORD src1_sel:WORD_1
	;; [unrolled: 1-line block ×4, first 2 shown]
	v_fma_f16 v34, v34, v172, -v80
	v_fma_f16 v78, v83, 2.0, -v76
	v_fmac_f16_e32 v77, v192, v158
	v_mul_f16_sdwa v88, v196, v160 dst_sel:DWORD dst_unused:UNUSED_PAD src0_sel:DWORD src1_sel:WORD_1
	v_mul_f16_sdwa v89, v27, v160 dst_sel:DWORD dst_unused:UNUSED_PAD src0_sel:DWORD src1_sel:WORD_1
	v_fmac_f16_e32 v81, v186, v172
	v_fma_f16 v35, v35, v165, -v82
	v_fma_f16 v36, v36, v164, -v85
	v_fmac_f16_e32 v84, v188, v165
	v_mul_f16_sdwa v43, v194, v159 dst_sel:DWORD dst_unused:UNUSED_PAD src0_sel:DWORD src1_sel:WORD_1
	v_mul_f16_sdwa v87, v26, v159 dst_sel:DWORD dst_unused:UNUSED_PAD src0_sel:DWORD src1_sel:WORD_1
	;; [unrolled: 1-line block ×4, first 2 shown]
	v_fmac_f16_e32 v86, v189, v164
	v_fma_f16 v26, v26, v159, -v43
	v_fmac_f16_e32 v87, v194, v159
	v_sub_f16_e32 v25, v18, v25
	v_sub_f16_e32 v43, v183, v79
	v_pack_b32_f16 v4, v4, v78
	v_fma_f16 v27, v27, v160, -v88
	v_fmac_f16_e32 v89, v196, v160
	v_sub_f16_e32 v37, v10, v37
	v_sub_f16_e32 v34, v19, v34
	v_fma_f16 v28, v28, v157, -v90
	v_fmac_f16_e32 v91, v198, v157
	v_mul_f16_sdwa v92, v200, v156 dst_sel:DWORD dst_unused:UNUSED_PAD src0_sel:DWORD src1_sel:WORD_1
	v_mul_f16_sdwa v93, v29, v156 dst_sel:DWORD dst_unused:UNUSED_PAD src0_sel:DWORD src1_sel:WORD_1
	;; [unrolled: 1-line block ×4, first 2 shown]
	v_sub_f16_e32 v35, v20, v35
	v_mul_f16_sdwa v76, v100, v179 dst_sel:DWORD dst_unused:UNUSED_PAD src0_sel:DWORD src1_sel:WORD_1
	v_mul_f16_sdwa v80, v22, v179 dst_sel:DWORD dst_unused:UNUSED_PAD src0_sel:DWORD src1_sel:WORD_1
	;; [unrolled: 1-line block ×6, first 2 shown]
	v_fma_f16 v41, v41, v150, -v211
	v_fma_f16 v22, v22, v179, -v76
	v_fmac_f16_e32 v80, v100, v179
	v_fmac_f16_e32 v212, v42, v150
	v_sub_f16_e32 v42, v191, v77
	v_sub_f16_e32 v77, v185, v81
	v_fma_f16 v23, v23, v178, -v82
	v_fmac_f16_e32 v83, v180, v178
	v_fma_f16 v24, v24, v177, -v85
	v_fmac_f16_e32 v184, v182, v177
	v_sub_f16_e32 v79, v187, v84
	v_sub_f16_e32 v36, v21, v36
	;; [unrolled: 1-line block ×6, first 2 shown]
	v_fma_f16 v18, v18, 2.0, -v25
	v_fma_f16 v41, v183, 2.0, -v43
	ds_write2_b32 v57, v4, v9 offset1:28
	v_sub_f16_e32 v4, v5, v22
	v_sub_f16_e32 v9, v96, v80
	v_mul_f16_sdwa v94, v202, v155 dst_sel:DWORD dst_unused:UNUSED_PAD src0_sel:DWORD src1_sel:WORD_1
	v_mul_f16_sdwa v95, v30, v155 dst_sel:DWORD dst_unused:UNUSED_PAD src0_sel:DWORD src1_sel:WORD_1
	v_fma_f16 v10, v10, 2.0, -v37
	v_fma_f16 v76, v191, 2.0, -v42
	v_sub_f16_e32 v27, v12, v27
	v_sub_f16_e32 v82, v195, v89
	v_pack_b32_f16 v37, v37, v42
	v_fma_f16 v19, v19, 2.0, -v34
	v_fma_f16 v42, v185, 2.0, -v77
	v_sub_f16_e32 v22, v6, v23
	v_sub_f16_e32 v23, v101, v83
	v_mul_f16_sdwa v97, v204, v153 dst_sel:DWORD dst_unused:UNUSED_PAD src0_sel:DWORD src1_sel:WORD_1
	v_mul_f16_sdwa v98, v31, v153 dst_sel:DWORD dst_unused:UNUSED_PAD src0_sel:DWORD src1_sel:WORD_1
	v_sub_f16_e32 v28, v13, v28
	v_sub_f16_e32 v84, v197, v91
	v_pack_b32_f16 v25, v25, v43
	v_sub_f16_e32 v24, v7, v24
	v_sub_f16_e32 v43, v181, v184
	v_mul_f16_sdwa v99, v206, v154 dst_sel:DWORD dst_unused:UNUSED_PAD src0_sel:DWORD src1_sel:WORD_1
	v_mul_f16_sdwa v192, v32, v154 dst_sel:DWORD dst_unused:UNUSED_PAD src0_sel:DWORD src1_sel:WORD_1
	;; [unrolled: 1-line block ×4, first 2 shown]
	v_fma_f16 v29, v29, v156, -v92
	v_fmac_f16_e32 v93, v200, v156
	v_fma_f16 v20, v20, 2.0, -v35
	v_fma_f16 v90, v187, 2.0, -v79
	;; [unrolled: 1-line block ×4, first 2 shown]
	v_pack_b32_f16 v34, v34, v77
	v_fma_f16 v11, v11, 2.0, -v26
	v_fma_f16 v77, v193, 2.0, -v78
	v_pack_b32_f16 v18, v18, v41
	v_fma_f16 v5, v5, 2.0, -v4
	v_fma_f16 v41, v96, 2.0, -v9
	v_fma_f16 v30, v30, v155, -v94
	v_fmac_f16_e32 v95, v202, v155
	v_pack_b32_f16 v35, v35, v79
	v_fma_f16 v12, v12, 2.0, -v27
	v_fma_f16 v79, v195, 2.0, -v82
	v_pack_b32_f16 v19, v19, v42
	v_fma_f16 v6, v6, 2.0, -v22
	v_fma_f16 v42, v101, 2.0, -v23
	v_fma_f16 v31, v31, v153, -v97
	v_fmac_f16_e32 v98, v204, v153
	v_fma_f16 v13, v13, 2.0, -v28
	v_fma_f16 v80, v197, 2.0, -v84
	v_pack_b32_f16 v10, v10, v76
	v_fma_f16 v7, v7, 2.0, -v24
	v_fma_f16 v76, v181, 2.0, -v43
	v_fma_f16 v32, v32, v154, -v99
	v_fmac_f16_e32 v192, v206, v154
	v_fma_f16 v33, v33, v152, -v209
	v_fmac_f16_e32 v210, v208, v152
	v_sub_f16_e32 v29, v14, v29
	v_sub_f16_e32 v85, v199, v93
	v_pack_b32_f16 v36, v36, v81
	v_pack_b32_f16 v26, v26, v78
	;; [unrolled: 1-line block ×7, first 2 shown]
	v_sub_f16_e32 v30, v15, v30
	v_sub_f16_e32 v86, v201, v95
	v_pack_b32_f16 v27, v27, v82
	v_pack_b32_f16 v9, v22, v23
	;; [unrolled: 1-line block ×4, first 2 shown]
	v_sub_f16_e32 v31, v16, v31
	v_sub_f16_e32 v87, v203, v98
	v_pack_b32_f16 v28, v28, v84
	v_pack_b32_f16 v22, v24, v43
	;; [unrolled: 1-line block ×4, first 2 shown]
	v_sub_f16_e32 v32, v17, v32
	v_sub_f16_e32 v88, v205, v192
	;; [unrolled: 1-line block ×4, first 2 shown]
	v_fma_f16 v14, v14, 2.0, -v29
	v_fma_f16 v81, v199, 2.0, -v85
	ds_write2_b32 v176, v5, v4 offset1:28
	ds_write2_b32 v174, v6, v9 offset1:28
	;; [unrolled: 1-line block ×3, first 2 shown]
	buffer_store_dword v139, off, s[20:23], 0 offset:32 ; 4-byte Folded Spill
	ds_write2_b32 v139, v18, v25 offset1:28
	buffer_store_dword v140, off, s[20:23], 0 offset:36 ; 4-byte Folded Spill
	ds_write2_b32 v140, v19, v34 offset1:28
	;; [unrolled: 2-line block ×5, first 2 shown]
	v_mad_u16 v4, v64, 56, v65
	buffer_store_dword v143, off, s[20:23], 0 offset:44 ; 4-byte Folded Spill
	ds_write2_b32 v143, v11, v26 offset1:28
	ds_write2_b32 v170, v12, v27 offset1:28
	;; [unrolled: 1-line block ×3, first 2 shown]
	v_mad_u16 v5, v66, 56, v68
	v_mad_u16 v7, v67, 56, v73
	;; [unrolled: 1-line block ×4, first 2 shown]
	v_fma_f16 v15, v15, 2.0, -v30
	v_fma_f16 v83, v201, 2.0, -v86
	;; [unrolled: 1-line block ×8, first 2 shown]
	v_sub_f16_e32 v189, v63, v212
	v_lshlrev_b32_sdwa v180, v45, v4 dst_sel:DWORD dst_unused:UNUSED_PAD src0_sel:DWORD src1_sel:WORD_0
	v_pack_b32_f16 v4, v14, v81
	v_pack_b32_f16 v6, v29, v85
	v_lshlrev_b32_sdwa v181, v45, v5 dst_sel:DWORD dst_unused:UNUSED_PAD src0_sel:DWORD src1_sel:WORD_0
	v_lshlrev_b32_sdwa v182, v45, v7 dst_sel:DWORD dst_unused:UNUSED_PAD src0_sel:DWORD src1_sel:WORD_0
	;; [unrolled: 1-line block ×4, first 2 shown]
	v_pack_b32_f16 v5, v15, v83
	v_pack_b32_f16 v9, v30, v86
	;; [unrolled: 1-line block ×8, first 2 shown]
	ds_write2_b32 v180, v4, v6 offset1:28
	ds_write2_b32 v181, v5, v9 offset1:28
	;; [unrolled: 1-line block ×5, first 2 shown]
	s_and_saveexec_b32 s1, s0
	s_cbranch_execz .LBB0_13
; %bb.12:
	v_fma_f16 v4, v62, 2.0, -v188
	v_fma_f16 v5, v63, 2.0, -v189
	v_perm_b32 v6, v189, v188, 0x5040100
	v_pack_b32_f16 v4, v4, v5
	v_add_nc_u32_e32 v5, 0x1c00, v47
	ds_write2_b32 v5, v4, v6 offset0:112 offset1:140
.LBB0_13:
	s_or_b32 exec_lo, exec_lo, s1
	v_mad_u64_u32 v[8:9], null, v133, 24, s[2:3]
	s_waitcnt lgkmcnt(0)
	s_waitcnt_vscnt null, 0x0
	s_barrier
	buffer_gl0_inv
	v_add_nc_u32_e32 v77, 0x200, v102
	v_add_nc_u32_e32 v86, 0xc00, v102
	v_add_nc_u32_e32 v87, 0x1400, v102
	s_clause 0x1
	global_load_dwordx4 v[4:7], v[8:9], off offset:208
	global_load_dwordx2 v[61:62], v[8:9], off offset:224
	v_lshrrev_b16 v8, 3, v40
	v_mov_b32_e32 v9, 0x2493
	v_add_nc_u32_e32 v80, 0x800, v102
	v_add_nc_u32_e32 v88, 0x1000, v102
	;; [unrolled: 1-line block ×4, first 2 shown]
	v_mul_u32_u24_sdwa v8, v8, v9 dst_sel:DWORD dst_unused:UNUSED_PAD src0_sel:WORD_0 src1_sel:DWORD
	v_lshrrev_b16 v9, 3, v39
	v_add_nc_u32_e32 v79, 0x1200, v102
	v_add_nc_u32_e32 v190, 0x1c00, v102
	;; [unrolled: 1-line block ×3, first 2 shown]
	v_lshrrev_b32_e32 v8, 16, v8
	v_and_b32_e32 v9, 31, v9
	v_mul_lo_u16 v8, v8, 56
	v_mul_lo_u16 v9, v9, 37
	v_sub_nc_u16 v24, v40, v8
	v_lshrrev_b16 v8, 3, v38
	v_lshrrev_b16 v9, 8, v9
	v_mul_lo_u16 v10, v24, 24
	v_and_b32_e32 v8, 31, v8
	v_mul_lo_u16 v9, v9, 56
	v_and_b32_e32 v10, 0xffff, v10
	v_mul_lo_u16 v8, v8, 37
	v_sub_nc_u16 v9, v39, v9
	v_add_co_u32 v12, s1, s2, v10
	v_lshrrev_b16 v14, 8, v8
	v_and_b32_e32 v25, 0xff, v9
	v_add_co_ci_u32_e64 v13, null, s3, 0, s1
	v_mul_lo_u16 v16, v14, 56
	v_mad_u64_u32 v[14:15], null, v25, 24, s[2:3]
	s_clause 0x1
	global_load_dwordx4 v[8:11], v[12:13], off offset:208
	global_load_dwordx2 v[63:64], v[12:13], off offset:224
	v_sub_nc_u16 v16, v38, v16
	v_and_b32_e32 v26, 0xff, v16
	global_load_dwordx4 v[16:19], v[14:15], off offset:208
	v_mad_u64_u32 v[20:21], null, v26, 24, s[2:3]
	s_clause 0x2
	global_load_dwordx2 v[67:68], v[14:15], off offset:224
	global_load_dwordx4 v[12:15], v[20:21], off offset:208
	global_load_dwordx2 v[65:66], v[20:21], off offset:224
	ds_read2_b32 v[27:28], v102 offset1:56
	ds_read_b32 v43, v102 offset:7616
	ds_read2_b32 v[20:21], v77 offset0:96 offset1:152
	ds_read2_b32 v[29:30], v80 offset0:48 offset1:104
	;; [unrolled: 1-line block ×12, first 2 shown]
	ds_read2_b32 v[81:82], v190 offset1:56
	ds_read2_b32 v[83:84], v89 offset0:192 offset1:248
	ds_read2_b32 v[91:92], v78 offset0:112 offset1:168
	;; [unrolled: 1-line block ×3, first 2 shown]
	s_waitcnt vmcnt(0) lgkmcnt(0)
	s_barrier
	buffer_gl0_inv
	v_lshrrev_b32_e32 v85, 16, v43
	v_lshrrev_b32_e32 v95, 16, v21
	;; [unrolled: 1-line block ×30, first 2 shown]
	v_mul_f16_sdwa v210, v95, v4 dst_sel:DWORD dst_unused:UNUSED_PAD src0_sel:DWORD src1_sel:WORD_1
	v_mul_f16_sdwa v211, v21, v4 dst_sel:DWORD dst_unused:UNUSED_PAD src0_sel:DWORD src1_sel:WORD_1
	;; [unrolled: 1-line block ×24, first 2 shown]
	v_fma_f16 v21, v21, v4, -v210
	v_fmac_f16_e32 v211, v95, v4
	v_fma_f16 v29, v29, v5, -v212
	v_fmac_f16_e32 v213, v96, v5
	;; [unrolled: 2-line block ×12, first 2 shown]
	v_add_f16_e32 v95, v21, v37
	v_add_f16_e32 v96, v211, v221
	v_sub_f16_e32 v21, v21, v37
	v_sub_f16_e32 v37, v211, v221
	v_add_f16_e32 v97, v29, v36
	v_add_f16_e32 v98, v213, v219
	v_sub_f16_e32 v29, v29, v36
	v_sub_f16_e32 v36, v213, v219
	;; [unrolled: 4-line block ×3, first 2 shown]
	v_add_f16_e32 v101, v39, v38
	v_add_f16_e32 v185, v223, v233
	;; [unrolled: 1-line block ×4, first 2 shown]
	v_sub_f16_e32 v38, v39, v38
	v_sub_f16_e32 v30, v30, v46
	;; [unrolled: 1-line block ×3, first 2 shown]
	v_add_f16_e32 v191, v41, v34
	v_add_f16_e32 v192, v227, v229
	v_sub_f16_e32 v34, v34, v41
	v_sub_f16_e32 v41, v229, v227
	v_add_f16_e32 v210, v97, v95
	v_add_f16_e32 v211, v98, v96
	v_sub_f16_e32 v212, v97, v95
	v_sub_f16_e32 v213, v98, v96
	;; [unrolled: 1-line block ×6, first 2 shown]
	v_add_f16_e32 v214, v32, v29
	v_add_f16_e32 v215, v33, v36
	v_sub_f16_e32 v216, v32, v29
	v_sub_f16_e32 v217, v33, v36
	;; [unrolled: 1-line block ×4, first 2 shown]
	v_add_f16_e32 v218, v186, v101
	v_add_f16_e32 v219, v187, v185
	v_sub_f16_e32 v39, v223, v233
	v_sub_f16_e32 v32, v21, v32
	;; [unrolled: 1-line block ×9, first 2 shown]
	v_add_f16_e32 v222, v34, v30
	v_add_f16_e32 v223, v41, v46
	v_sub_f16_e32 v224, v34, v30
	v_sub_f16_e32 v225, v41, v46
	;; [unrolled: 1-line block ×3, first 2 shown]
	v_add_f16_e32 v99, v99, v210
	v_add_f16_e32 v100, v100, v211
	;; [unrolled: 1-line block ×4, first 2 shown]
	v_mul_f16_e32 v95, 0x3a52, v95
	v_mul_f16_e32 v96, 0x3a52, v96
	;; [unrolled: 1-line block ×8, first 2 shown]
	v_add_f16_e32 v191, v191, v218
	v_add_f16_e32 v192, v192, v219
	v_sub_f16_e32 v46, v46, v39
	v_sub_f16_e32 v34, v38, v34
	;; [unrolled: 1-line block ×3, first 2 shown]
	v_add_f16_e32 v38, v222, v38
	v_add_f16_e32 v39, v223, v39
	v_mul_f16_e32 v101, 0x3a52, v101
	v_mul_f16_e32 v185, 0x3a52, v185
	;; [unrolled: 1-line block ×7, first 2 shown]
	v_add_f16_e32 v226, v27, v99
	v_add_f16_sdwa v27, v27, v100 dst_sel:DWORD dst_unused:UNUSED_PAD src0_sel:WORD_1 src1_sel:DWORD
	v_fmamk_f16 v97, v97, 0x2b26, v95
	v_fmamk_f16 v98, v98, 0x2b26, v96
	v_fma_f16 v210, v212, 0x39e0, -v210
	v_fma_f16 v211, v213, 0x39e0, -v211
	v_fma_f16 v95, v212, 0xb9e0, -v95
	v_fma_f16 v96, v213, 0xb9e0, -v96
	v_fmamk_f16 v212, v32, 0x3574, v214
	v_fmamk_f16 v213, v33, 0x3574, v215
	v_fma_f16 v29, v29, 0x3b00, -v214
	v_fma_f16 v36, v36, 0x3b00, -v215
	;; [unrolled: 1-line block ×4, first 2 shown]
	v_add_f16_e32 v214, v28, v191
	v_add_f16_sdwa v28, v28, v192 dst_sel:DWORD dst_unused:UNUSED_PAD src0_sel:WORD_1 src1_sel:DWORD
	v_mul_f16_e32 v225, 0x3b00, v46
	v_fmamk_f16 v186, v186, 0x2b26, v101
	v_fmamk_f16 v187, v187, 0x2b26, v185
	v_fma_f16 v215, v220, 0x39e0, -v218
	v_fma_f16 v216, v221, 0x39e0, -v219
	;; [unrolled: 1-line block ×3, first 2 shown]
	v_fmamk_f16 v217, v34, 0x3574, v222
	v_fmamk_f16 v218, v41, 0x3574, v223
	v_fma_f16 v46, v46, 0x3b00, -v223
	v_fma_f16 v34, v34, 0xb574, -v224
	v_fmamk_f16 v99, v99, 0xbcab, v226
	v_fmamk_f16 v100, v100, 0xbcab, v27
	v_fmac_f16_e32 v212, 0x370e, v21
	v_fmac_f16_e32 v213, 0x370e, v37
	;; [unrolled: 1-line block ×6, first 2 shown]
	v_fmamk_f16 v21, v191, 0xbcab, v214
	v_fmamk_f16 v37, v192, 0xbcab, v28
	v_mul_f16_sdwa v228, v193, v16 dst_sel:DWORD dst_unused:UNUSED_PAD src0_sel:DWORD src1_sel:WORD_1
	v_mul_f16_sdwa v230, v194, v17 dst_sel:DWORD dst_unused:UNUSED_PAD src0_sel:DWORD src1_sel:WORD_1
	v_mul_f16_sdwa v236, v197, v67 dst_sel:DWORD dst_unused:UNUSED_PAD src0_sel:DWORD src1_sel:WORD_1
	v_mul_f16_sdwa v238, v198, v68 dst_sel:DWORD dst_unused:UNUSED_PAD src0_sel:DWORD src1_sel:WORD_1
	v_fma_f16 v101, v220, 0xb9e0, -v101
	v_fma_f16 v30, v30, 0x3b00, -v222
	;; [unrolled: 1-line block ×3, first 2 shown]
	v_mul_f16_sdwa v229, v40, v16 dst_sel:DWORD dst_unused:UNUSED_PAD src0_sel:DWORD src1_sel:WORD_1
	v_mul_f16_sdwa v231, v73, v17 dst_sel:DWORD dst_unused:UNUSED_PAD src0_sel:DWORD src1_sel:WORD_1
	v_mul_f16_sdwa v237, v47, v67 dst_sel:DWORD dst_unused:UNUSED_PAD src0_sel:DWORD src1_sel:WORD_1
	v_mul_f16_sdwa v239, v81, v68 dst_sel:DWORD dst_unused:UNUSED_PAD src0_sel:DWORD src1_sel:WORD_1
	v_fmac_f16_e32 v218, 0x370e, v39
	v_fmac_f16_e32 v46, 0x370e, v39
	;; [unrolled: 1-line block ×3, first 2 shown]
	v_mul_f16_sdwa v227, v43, v64 dst_sel:DWORD dst_unused:UNUSED_PAD src0_sel:DWORD src1_sel:WORD_1
	v_mul_f16_sdwa v232, v195, v18 dst_sel:DWORD dst_unused:UNUSED_PAD src0_sel:DWORD src1_sel:WORD_1
	;; [unrolled: 1-line block ×7, first 2 shown]
	v_add_f16_e32 v97, v97, v99
	v_add_f16_e32 v98, v98, v100
	;; [unrolled: 1-line block ×11, first 2 shown]
	v_fma_f16 v40, v40, v16, -v228
	v_fma_f16 v73, v73, v17, -v230
	;; [unrolled: 1-line block ×4, first 2 shown]
	v_fmac_f16_e32 v217, 0x370e, v38
	v_fmac_f16_e32 v30, 0x370e, v38
	;; [unrolled: 1-line block ×3, first 2 shown]
	v_mul_f16_sdwa v38, v205, v8 dst_sel:DWORD dst_unused:UNUSED_PAD src0_sel:DWORD src1_sel:WORD_1
	v_mul_f16_sdwa v219, v207, v10 dst_sel:DWORD dst_unused:UNUSED_PAD src0_sel:DWORD src1_sel:WORD_1
	;; [unrolled: 1-line block ×3, first 2 shown]
	v_add_f16_e32 v21, v101, v21
	v_fmac_f16_e32 v229, v193, v16
	v_fmac_f16_e32 v231, v194, v17
	;; [unrolled: 1-line block ×4, first 2 shown]
	v_mul_f16_sdwa v225, v85, v64 dst_sel:DWORD dst_unused:UNUSED_PAD src0_sel:DWORD src1_sel:WORD_1
	v_mul_f16_sdwa v241, v83, v12 dst_sel:DWORD dst_unused:UNUSED_PAD src0_sel:DWORD src1_sel:WORD_1
	;; [unrolled: 1-line block ×5, first 2 shown]
	v_fmac_f16_e32 v227, v85, v64
	v_fma_f16 v42, v42, v18, -v232
	v_fmac_f16_e32 v233, v195, v18
	v_fma_f16 v75, v75, v19, -v234
	;; [unrolled: 2-line block ×3, first 2 shown]
	v_fma_f16 v91, v93, v65, -v248
	v_add_f16_e32 v93, v213, v97
	v_add_f16_e32 v101, v33, v95
	v_sub_f16_e32 v33, v95, v33
	v_sub_f16_e32 v95, v97, v213
	v_add_f16_e32 v97, v218, v99
	v_sub_f16_e32 v195, v37, v34
	v_sub_f16_e32 v196, v186, v46
	v_add_f16_e32 v46, v46, v186
	v_add_f16_e32 v34, v34, v37
	v_sub_f16_e32 v37, v99, v218
	v_add_f16_e32 v99, v40, v81
	v_add_f16_e32 v186, v73, v47
	v_mul_f16_sdwa v39, v84, v8 dst_sel:DWORD dst_unused:UNUSED_PAD src0_sel:DWORD src1_sel:WORD_1
	v_mul_f16_sdwa v220, v92, v10 dst_sel:DWORD dst_unused:UNUSED_PAD src0_sel:DWORD src1_sel:WORD_1
	;; [unrolled: 1-line block ×3, first 2 shown]
	v_fma_f16 v38, v84, v8, -v38
	v_fma_f16 v84, v92, v10, -v219
	;; [unrolled: 1-line block ×3, first 2 shown]
	v_sub_f16_e32 v94, v98, v212
	v_sub_f16_e32 v185, v96, v32
	v_add_f16_e32 v32, v32, v96
	v_add_f16_e32 v96, v212, v98
	v_sub_f16_e32 v98, v100, v217
	v_add_f16_e32 v194, v41, v21
	v_add_f16_e32 v197, v30, v187
	v_sub_f16_e32 v30, v187, v30
	v_sub_f16_e32 v21, v21, v41
	v_add_f16_e32 v41, v217, v100
	v_add_f16_e32 v100, v229, v239
	;; [unrolled: 1-line block ×3, first 2 shown]
	v_mul_f16_sdwa v192, v31, v9 dst_sel:DWORD dst_unused:UNUSED_PAD src0_sel:DWORD src1_sel:WORD_1
	v_mul_f16_sdwa v240, v199, v12 dst_sel:DWORD dst_unused:UNUSED_PAD src0_sel:DWORD src1_sel:WORD_1
	;; [unrolled: 1-line block ×5, first 2 shown]
	v_fmac_f16_e32 v241, v199, v12
	v_fmac_f16_e32 v243, v200, v13
	v_sub_f16_e32 v40, v40, v81
	v_sub_f16_e32 v81, v229, v239
	;; [unrolled: 1-line block ×4, first 2 shown]
	v_add_f16_e32 v198, v42, v75
	v_add_f16_e32 v199, v233, v235
	v_sub_f16_e32 v42, v75, v42
	v_sub_f16_e32 v75, v235, v233
	v_add_f16_e32 v200, v186, v99
	v_fmac_f16_e32 v245, v201, v14
	v_add_f16_e32 v201, v187, v100
	v_mul_f16_sdwa v191, v206, v9 dst_sel:DWORD dst_unused:UNUSED_PAD src0_sel:DWORD src1_sel:WORD_1
	v_mul_f16_sdwa v222, v35, v11 dst_sel:DWORD dst_unused:UNUSED_PAD src0_sel:DWORD src1_sel:WORD_1
	;; [unrolled: 1-line block ×4, first 2 shown]
	v_fmac_f16_e32 v39, v205, v8
	v_fmac_f16_e32 v192, v206, v9
	;; [unrolled: 1-line block ×6, first 2 shown]
	v_sub_f16_e32 v202, v186, v99
	v_sub_f16_e32 v203, v187, v100
	;; [unrolled: 1-line block ×6, first 2 shown]
	v_add_f16_e32 v204, v42, v47
	v_add_f16_e32 v205, v75, v73
	v_sub_f16_e32 v206, v42, v47
	v_sub_f16_e32 v207, v75, v73
	v_add_f16_e32 v198, v198, v200
	v_sub_f16_e32 v73, v73, v81
	v_sub_f16_e32 v47, v47, v40
	v_add_f16_e32 v199, v199, v201
	v_mul_f16_sdwa v221, v208, v11 dst_sel:DWORD dst_unused:UNUSED_PAD src0_sel:DWORD src1_sel:WORD_1
	v_fmac_f16_e32 v222, v208, v11
	v_sub_f16_e32 v42, v40, v42
	v_sub_f16_e32 v75, v81, v75
	v_add_f16_e32 v40, v204, v40
	v_add_f16_e32 v81, v205, v81
	;; [unrolled: 1-line block ×3, first 2 shown]
	v_mul_f16_e32 v99, 0x3a52, v99
	v_mul_f16_e32 v100, 0x3a52, v100
	;; [unrolled: 1-line block ×7, first 2 shown]
	v_add_f16_sdwa v22, v22, v199 dst_sel:DWORD dst_unused:UNUSED_PAD src0_sel:WORD_1 src1_sel:DWORD
	v_mul_f16_e32 v207, 0x3b00, v47
	v_fmamk_f16 v198, v198, 0xbcab, v200
	v_fmamk_f16 v186, v186, 0x2b26, v99
	;; [unrolled: 1-line block ×3, first 2 shown]
	v_fma_f16 v201, v202, 0x39e0, -v201
	v_fma_f16 v204, v203, 0x39e0, -v204
	;; [unrolled: 1-line block ×4, first 2 shown]
	v_fmamk_f16 v203, v75, 0x3574, v206
	v_fma_f16 v73, v73, 0x3b00, -v206
	v_fma_f16 v75, v75, 0xb574, -v208
	v_fmamk_f16 v199, v199, 0xbcab, v22
	v_fmamk_f16 v202, v42, 0x3574, v205
	v_fma_f16 v42, v42, 0xb574, -v207
	v_fma_f16 v83, v83, v12, -v240
	;; [unrolled: 1-line block ×5, first 2 shown]
	v_add_f16_e32 v186, v186, v198
	v_add_f16_e32 v201, v201, v198
	;; [unrolled: 1-line block ×3, first 2 shown]
	v_fmac_f16_e32 v203, 0x370e, v81
	v_fmac_f16_e32 v75, 0x370e, v81
	;; [unrolled: 1-line block ×3, first 2 shown]
	v_add_f16_e32 v187, v187, v199
	v_add_f16_e32 v100, v100, v199
	v_fmac_f16_e32 v202, 0x370e, v40
	v_fmac_f16_e32 v42, 0x370e, v40
	v_fma_f16 v76, v76, v15, -v246
	v_add_f16_e32 v204, v204, v199
	v_fmac_f16_e32 v47, 0x370e, v40
	v_add_f16_e32 v40, v203, v186
	v_add_f16_e32 v198, v75, v99
	v_sub_f16_e32 v205, v201, v73
	v_add_f16_e32 v73, v73, v201
	v_sub_f16_e32 v75, v99, v75
	v_sub_f16_e32 v99, v186, v203
	v_add_f16_e32 v186, v83, v82
	v_add_f16_e32 v201, v74, v91
	v_sub_f16_e32 v81, v187, v202
	v_sub_f16_e32 v199, v100, v42
	v_add_f16_e32 v42, v42, v100
	v_add_f16_e32 v100, v202, v187
	v_add_f16_e32 v187, v241, v251
	v_add_f16_e32 v202, v243, v249
	v_add_f16_e32 v206, v47, v204
	v_sub_f16_e32 v47, v204, v47
	v_sub_f16_e32 v82, v83, v82
	;; [unrolled: 1-line block ×5, first 2 shown]
	v_add_f16_e32 v203, v85, v76
	v_add_f16_e32 v204, v245, v247
	v_sub_f16_e32 v76, v76, v85
	v_sub_f16_e32 v85, v247, v245
	v_add_f16_e32 v207, v201, v186
	v_add_f16_e32 v208, v202, v187
	v_fma_f16 v31, v31, v9, -v191
	v_fmac_f16_e32 v224, v209, v63
	v_sub_f16_e32 v191, v210, v36
	v_add_f16_e32 v193, v29, v211
	v_add_f16_e32 v36, v36, v210
	v_sub_f16_e32 v29, v211, v29
	v_sub_f16_e32 v209, v201, v186
	;; [unrolled: 1-line block ×7, first 2 shown]
	v_add_f16_e32 v211, v76, v74
	v_add_f16_e32 v212, v85, v91
	v_sub_f16_e32 v213, v76, v74
	v_sub_f16_e32 v215, v85, v91
	v_add_f16_e32 v203, v203, v207
	v_sub_f16_e32 v91, v91, v83
	v_sub_f16_e32 v74, v74, v82
	;; [unrolled: 3-line block ×3, first 2 shown]
	v_add_f16_e32 v82, v211, v82
	v_add_f16_e32 v83, v212, v83
	v_add_f16_e32 v207, v23, v203
	v_mul_f16_e32 v186, 0x3a52, v186
	v_mul_f16_e32 v187, 0x3a52, v187
	;; [unrolled: 1-line block ×6, first 2 shown]
	v_add_f16_sdwa v23, v23, v204 dst_sel:DWORD dst_unused:UNUSED_PAD src0_sel:WORD_1 src1_sel:DWORD
	v_mul_f16_e32 v208, 0x2b26, v201
	v_mul_f16_e32 v215, 0x3b00, v74
	v_fmamk_f16 v203, v203, 0xbcab, v207
	v_fmamk_f16 v201, v201, 0x2b26, v186
	;; [unrolled: 1-line block ×3, first 2 shown]
	v_fma_f16 v211, v210, 0x39e0, -v211
	v_fma_f16 v186, v209, 0xb9e0, -v186
	;; [unrolled: 1-line block ×3, first 2 shown]
	v_fmamk_f16 v210, v85, 0x3574, v213
	v_fma_f16 v85, v85, 0xb574, -v216
	v_fmamk_f16 v204, v204, 0xbcab, v23
	v_fma_f16 v208, v209, 0x39e0, -v208
	;; [unrolled: 2-line block ×3, first 2 shown]
	v_fma_f16 v76, v76, 0xb574, -v215
	v_fma_f16 v43, v43, v64, -v225
	v_add_f16_e32 v186, v186, v203
	v_fmac_f16_e32 v85, 0x370e, v83
	v_fma_f16 v74, v74, 0x3b00, -v212
	v_add_f16_e32 v208, v208, v203
	v_add_f16_e32 v187, v187, v204
	v_fmac_f16_e32 v76, 0x370e, v82
	v_fmac_f16_e32 v91, 0x370e, v83
	v_fma_f16 v35, v35, v11, -v221
	v_add_f16_e32 v201, v201, v203
	v_add_f16_e32 v202, v202, v204
	v_fmac_f16_e32 v209, 0x370e, v82
	v_fmac_f16_e32 v210, 0x370e, v83
	v_add_f16_e32 v203, v85, v186
	v_sub_f16_e32 v85, v186, v85
	v_add_f16_e32 v186, v38, v43
	v_sub_f16_e32 v38, v38, v43
	v_add_f16_e32 v43, v31, v92
	v_add_f16_e32 v211, v211, v204
	v_fmac_f16_e32 v74, 0x370e, v82
	v_sub_f16_e32 v204, v187, v76
	v_sub_f16_e32 v212, v208, v91
	v_add_f16_e32 v91, v91, v208
	v_add_f16_e32 v76, v76, v187
	v_add_f16_e32 v187, v39, v227
	v_add_f16_e32 v208, v192, v224
	v_add_f16_e32 v82, v210, v201
	v_sub_f16_e32 v83, v202, v209
	v_sub_f16_e32 v201, v201, v210
	v_add_f16_e32 v202, v209, v202
	v_sub_f16_e32 v39, v39, v227
	v_sub_f16_e32 v31, v31, v92
	;; [unrolled: 1-line block ×3, first 2 shown]
	v_add_f16_e32 v192, v84, v35
	v_add_f16_e32 v209, v220, v222
	v_sub_f16_e32 v35, v35, v84
	v_sub_f16_e32 v84, v222, v220
	v_add_f16_e32 v210, v43, v186
	v_add_f16_e32 v213, v74, v211
	v_sub_f16_e32 v74, v211, v74
	v_add_f16_e32 v211, v208, v187
	v_sub_f16_e32 v215, v43, v186
	v_sub_f16_e32 v216, v208, v187
	;; [unrolled: 1-line block ×6, first 2 shown]
	v_add_f16_e32 v217, v35, v31
	v_add_f16_e32 v218, v84, v92
	v_sub_f16_e32 v219, v35, v31
	v_sub_f16_e32 v220, v84, v92
	v_add_f16_e32 v192, v192, v210
	v_sub_f16_e32 v92, v92, v39
	v_sub_f16_e32 v31, v31, v38
	;; [unrolled: 3-line block ×3, first 2 shown]
	v_add_f16_e32 v38, v217, v38
	v_add_f16_e32 v39, v218, v39
	;; [unrolled: 1-line block ×3, first 2 shown]
	v_mul_f16_e32 v186, 0x3a52, v186
	v_mul_f16_e32 v187, 0x3a52, v187
	;; [unrolled: 1-line block ×6, first 2 shown]
	v_add_f16_sdwa v20, v20, v209 dst_sel:DWORD dst_unused:UNUSED_PAD src0_sel:WORD_1 src1_sel:DWORD
	v_mul_f16_e32 v211, 0x2b26, v43
	v_mul_f16_e32 v220, 0x3b00, v31
	v_fmamk_f16 v192, v192, 0xbcab, v210
	v_fmamk_f16 v43, v43, 0x2b26, v186
	;; [unrolled: 1-line block ×3, first 2 shown]
	v_fma_f16 v217, v216, 0x39e0, -v217
	v_fma_f16 v186, v215, 0xb9e0, -v186
	;; [unrolled: 1-line block ×3, first 2 shown]
	v_fmamk_f16 v216, v84, 0x3574, v219
	v_fma_f16 v84, v84, 0xb574, -v221
	v_pack_b32_f16 v27, v226, v27
	v_pack_b32_f16 v93, v93, v94
	v_fmamk_f16 v209, v209, 0xbcab, v20
	v_fma_f16 v211, v215, 0x39e0, -v211
	v_fmamk_f16 v215, v35, 0x3574, v218
	v_fma_f16 v35, v35, 0xb574, -v220
	v_fma_f16 v31, v31, 0x3b00, -v218
	;; [unrolled: 1-line block ×3, first 2 shown]
	v_add_f16_e32 v186, v186, v192
	v_fmac_f16_e32 v84, 0x370e, v39
	ds_write2_b32 v102, v27, v93 offset1:56
	v_pack_b32_f16 v27, v101, v185
	v_pack_b32_f16 v93, v191, v193
	v_lshlrev_b32_e32 v185, 2, v25
	v_pack_b32_f16 v29, v36, v29
	v_pack_b32_f16 v32, v33, v32
	;; [unrolled: 1-line block ×6, first 2 shown]
	v_add_f16_e32 v43, v43, v192
	v_add_f16_e32 v208, v208, v209
	;; [unrolled: 1-line block ×3, first 2 shown]
	v_fmac_f16_e32 v215, 0x370e, v38
	v_fmac_f16_e32 v216, 0x370e, v39
	;; [unrolled: 1-line block ×3, first 2 shown]
	v_pack_b32_f16 v96, v196, v197
	v_pack_b32_f16 v30, v46, v30
	;; [unrolled: 1-line block ×4, first 2 shown]
	v_add_f16_e32 v211, v211, v192
	v_add_f16_e32 v217, v217, v209
	v_fmac_f16_e32 v31, 0x370e, v38
	v_fmac_f16_e32 v92, 0x370e, v39
	v_add_f16_e32 v192, v84, v186
	v_sub_f16_e32 v84, v186, v84
	ds_write2_b32 v102, v27, v93 offset0:112 offset1:168
	ds_write2_b32 v77, v29, v32 offset0:96 offset1:152
	;; [unrolled: 1-line block ×5, first 2 shown]
	v_pack_b32_f16 v22, v200, v22
	v_pack_b32_f16 v27, v40, v81
	v_add_nc_u32_e32 v28, 0xc00, v185
	v_lshlrev_b32_e32 v186, 2, v26
	v_pack_b32_f16 v29, v198, v199
	v_pack_b32_f16 v30, v205, v206
	v_add_f16_e32 v38, v216, v43
	v_sub_f16_e32 v39, v208, v215
	v_sub_f16_e32 v209, v187, v35
	v_add_f16_e32 v35, v35, v187
	v_pack_b32_f16 v32, v73, v47
	v_pack_b32_f16 v33, v75, v42
	v_add_nc_u32_e32 v34, 0xe00, v185
	ds_write2_b32 v80, v21, v25 offset0:160 offset1:216
	ds_write2_b32 v28, v22, v27 offset0:16 offset1:72
	;; [unrolled: 1-line block ×3, first 2 shown]
	v_pack_b32_f16 v21, v99, v100
	v_lshlrev_b32_sdwa v187, v45, v24 dst_sel:DWORD dst_unused:UNUSED_PAD src0_sel:DWORD src1_sel:WORD_0
	v_sub_f16_e32 v218, v211, v92
	v_add_f16_e32 v219, v31, v217
	v_pack_b32_f16 v22, v207, v23
	v_pack_b32_f16 v23, v82, v83
	v_add_nc_u32_e32 v25, 0x1000, v186
	v_add_f16_e32 v92, v92, v211
	v_sub_f16_e32 v31, v217, v31
	v_pack_b32_f16 v26, v203, v204
	v_pack_b32_f16 v27, v212, v213
	v_add_nc_u32_e32 v28, 0x1400, v186
	v_pack_b32_f16 v29, v91, v74
	v_pack_b32_f16 v30, v85, v76
	v_sub_f16_e32 v43, v43, v216
	v_add_f16_e32 v94, v215, v208
	ds_write2_b32 v34, v32, v33 offset0:112 offset1:168
	ds_write_b32 v185, v21 offset:4480
	ds_write2_b32 v25, v22, v23 offset0:152 offset1:208
	ds_write2_b32 v28, v26, v27 offset0:8 offset1:64
	v_pack_b32_f16 v21, v201, v202
	v_pack_b32_f16 v20, v210, v20
	;; [unrolled: 1-line block ×3, first 2 shown]
	v_add_nc_u32_e32 v23, 0x1800, v187
	v_pack_b32_f16 v24, v192, v209
	v_pack_b32_f16 v25, v218, v219
	ds_write2_b32 v28, v29, v30 offset0:120 offset1:176
	v_pack_b32_f16 v26, v92, v31
	v_pack_b32_f16 v27, v84, v35
	v_add_nc_u32_e32 v28, 0x1c00, v187
	ds_write_b32 v186, v21 offset:6048
	v_pack_b32_f16 v21, v43, v94
	ds_write2_b32 v23, v20, v22 offset0:32 offset1:88
	ds_write2_b32 v23, v24, v25 offset0:144 offset1:200
	ds_write2_b32 v28, v26, v27 offset1:56
	v_lshlrev_b32_e32 v20, 2, v71
	v_add_co_u32 v81, s1, s16, v71
	ds_write_b32 v187, v21 offset:7616
	s_waitcnt lgkmcnt(0)
	s_barrier
	buffer_gl0_inv
	global_load_dwordx4 v[40:43], v20, s[2:3] offset:1552
	v_lshlrev_b32_e32 v20, 2, v44
	v_add_co_ci_u32_e64 v82, null, s17, 0, s1
	global_load_dwordx4 v[44:47], v20, s[2:3] offset:1552
	v_lshlrev_b32_e32 v20, 2, v72
	global_load_dwordx4 v[32:35], v20, s[2:3] offset:1552
	v_lshlrev_b32_e32 v20, 2, v70
	s_clause 0x1
	global_load_dwordx4 v[36:39], v20, s[2:3] offset:1552
	global_load_dwordx4 v[28:31], v138, s[2:3] offset:1552
	v_lshlrev_b32_e32 v20, 2, v69
	s_clause 0x1
	global_load_dwordx4 v[24:27], v20, s[2:3] offset:1552
	global_load_dwordx4 v[20:23], v141, s[2:3] offset:1552
	ds_read2_b32 v[75:76], v102 offset1:56
	ds_read2_b32 v[69:70], v89 offset0:80 offset1:136
	ds_read2_b32 v[94:95], v86 offset0:16 offset1:72
	ds_read2_b32 v[96:97], v88 offset0:96 offset1:152
	ds_read2_b32 v[98:99], v90 offset0:32 offset1:88
	ds_read2_b32 v[100:101], v89 offset0:192 offset1:248
	ds_read2_b32 v[192:193], v79 offset0:80 offset1:136
	ds_read2_b32 v[194:195], v86 offset0:128 offset1:184
	ds_read2_b32 v[196:197], v90 offset0:144 offset1:200
	ds_read2_b32 v[198:199], v80 offset0:48 offset1:104
	ds_read2_b32 v[200:201], v87 offset0:64 offset1:120
	ds_read2_b32 v[202:203], v78 offset0:112 offset1:168
	ds_read2_b32 v[207:208], v190 offset1:56
	ds_read2_b32 v[210:211], v80 offset0:160 offset1:216
	ds_read2_b32 v[215:216], v87 offset0:176 offset1:232
	ds_read_b32 v223, v102 offset:7616
	ds_read2_b32 v[73:74], v102 offset0:112 offset1:168
	ds_read2_b32 v[71:72], v77 offset0:96 offset1:152
	s_waitcnt lgkmcnt(17)
	v_lshrrev_b32_e32 v93, 16, v75
	s_waitcnt lgkmcnt(16)
	v_lshrrev_b32_e32 v204, 16, v70
	;; [unrolled: 2-line block ×3, first 2 shown]
	v_lshrrev_b32_e32 v213, 16, v95
	s_waitcnt lgkmcnt(13)
	v_lshrrev_b32_e32 v217, 16, v99
	s_waitcnt lgkmcnt(12)
	;; [unrolled: 2-line block ×4, first 2 shown]
	v_lshrrev_b32_e32 v219, 16, v194
	v_lshrrev_b32_e32 v220, 16, v193
	s_waitcnt lgkmcnt(9)
	v_lshrrev_b32_e32 v221, 16, v196
	s_waitcnt lgkmcnt(8)
	;; [unrolled: 2-line block ×3, first 2 shown]
	v_lshrrev_b32_e32 v225, 16, v200
	v_lshrrev_b32_e32 v226, 16, v197
	;; [unrolled: 1-line block ×4, first 2 shown]
	s_waitcnt lgkmcnt(6)
	v_lshrrev_b32_e32 v228, 16, v202
	v_lshrrev_b32_e32 v224, 16, v195
	s_waitcnt lgkmcnt(5)
	v_lshrrev_b32_e32 v230, 16, v207
	s_waitcnt lgkmcnt(4)
	v_lshrrev_b32_e32 v231, 16, v210
	v_lshrrev_b32_e32 v206, 16, v97
	s_waitcnt lgkmcnt(3)
	v_lshrrev_b32_e32 v233, 16, v215
	v_lshrrev_b32_e32 v209, 16, v98
	;; [unrolled: 1-line block ×8, first 2 shown]
	s_waitcnt lgkmcnt(2)
	v_lshrrev_b32_e32 v240, 16, v223
	v_lshrrev_b32_e32 v92, 16, v76
	s_waitcnt lgkmcnt(1)
	v_lshrrev_b32_e32 v91, 16, v73
	v_lshrrev_b32_e32 v85, 16, v74
	;; [unrolled: 3-line block ×3, first 2 shown]
	v_lshrrev_b32_e32 v191, 16, v69
	s_waitcnt vmcnt(6)
	v_mul_f16_sdwa v236, v204, v40 dst_sel:DWORD dst_unused:UNUSED_PAD src0_sel:DWORD src1_sel:WORD_1
	v_mul_f16_sdwa v237, v70, v40 dst_sel:DWORD dst_unused:UNUSED_PAD src0_sel:DWORD src1_sel:WORD_1
	;; [unrolled: 1-line block ×5, first 2 shown]
	v_fma_f16 v236, v70, v40, -v236
	v_mul_f16_sdwa v70, v205, v41 dst_sel:DWORD dst_unused:UNUSED_PAD src0_sel:DWORD src1_sel:WORD_1
	s_waitcnt vmcnt(5)
	v_mul_f16_sdwa v247, v100, v44 dst_sel:DWORD dst_unused:UNUSED_PAD src0_sel:DWORD src1_sel:WORD_1
	v_mul_f16_sdwa v248, v95, v45 dst_sel:DWORD dst_unused:UNUSED_PAD src0_sel:DWORD src1_sel:WORD_1
	v_fmac_f16_e32 v237, v204, v40
	v_mul_f16_sdwa v204, v206, v42 dst_sel:DWORD dst_unused:UNUSED_PAD src0_sel:DWORD src1_sel:WORD_1
	v_fma_f16 v244, v94, v41, -v70
	v_mul_f16_sdwa v70, v212, v44 dst_sel:DWORD dst_unused:UNUSED_PAD src0_sel:DWORD src1_sel:WORD_1
	v_mul_f16_sdwa v94, v213, v45 dst_sel:DWORD dst_unused:UNUSED_PAD src0_sel:DWORD src1_sel:WORD_1
	v_fmac_f16_e32 v247, v212, v44
	s_waitcnt vmcnt(4)
	v_mul_f16_sdwa v57, v193, v34 dst_sel:DWORD dst_unused:UNUSED_PAD src0_sel:DWORD src1_sel:WORD_1
	v_mul_f16_sdwa v143, v194, v33 dst_sel:DWORD dst_unused:UNUSED_PAD src0_sel:DWORD src1_sel:WORD_1
	v_fma_f16 v249, v100, v44, -v70
	v_fma_f16 v250, v95, v45, -v94
	v_mul_f16_sdwa v70, v214, v46 dst_sel:DWORD dst_unused:UNUSED_PAD src0_sel:DWORD src1_sel:WORD_1
	v_mul_f16_sdwa v94, v217, v47 dst_sel:DWORD dst_unused:UNUSED_PAD src0_sel:DWORD src1_sel:WORD_1
	;; [unrolled: 1-line block ×3, first 2 shown]
	s_waitcnt vmcnt(3)
	v_mul_f16_sdwa v163, v195, v37 dst_sel:DWORD dst_unused:UNUSED_PAD src0_sel:DWORD src1_sel:WORD_1
	v_fmac_f16_e32 v57, v220, v34
	v_fma_f16 v253, v192, v46, -v70
	v_fma_f16 v212, v99, v47, -v94
	v_mul_f16_sdwa v70, v219, v33 dst_sel:DWORD dst_unused:UNUSED_PAD src0_sel:DWORD src1_sel:WORD_1
	v_mul_f16_sdwa v94, v220, v34 dst_sel:DWORD dst_unused:UNUSED_PAD src0_sel:DWORD src1_sel:WORD_1
	v_fma_f16 v254, v101, v32, -v95
	v_mul_f16_sdwa v95, v224, v37 dst_sel:DWORD dst_unused:UNUSED_PAD src0_sel:DWORD src1_sel:WORD_1
	v_mul_f16_sdwa v167, v197, v39 dst_sel:DWORD dst_unused:UNUSED_PAD src0_sel:DWORD src1_sel:WORD_1
	v_fma_f16 v136, v194, v33, -v70
	v_fma_f16 v137, v193, v34, -v94
	v_mul_f16_sdwa v70, v221, v35 dst_sel:DWORD dst_unused:UNUSED_PAD src0_sel:DWORD src1_sel:WORD_1
	v_mul_f16_sdwa v94, v222, v36 dst_sel:DWORD dst_unused:UNUSED_PAD src0_sel:DWORD src1_sel:WORD_1
	v_fmac_f16_e32 v163, v224, v37
	v_fmac_f16_e32 v143, v219, v33
	;; [unrolled: 1-line block ×3, first 2 shown]
	v_fma_f16 v142, v196, v35, -v70
	v_fma_f16 v161, v198, v36, -v94
	v_mul_f16_sdwa v70, v225, v38 dst_sel:DWORD dst_unused:UNUSED_PAD src0_sel:DWORD src1_sel:WORD_1
	v_mul_f16_sdwa v94, v226, v39 dst_sel:DWORD dst_unused:UNUSED_PAD src0_sel:DWORD src1_sel:WORD_1
	s_waitcnt vmcnt(2)
	v_mul_f16_sdwa v219, v207, v31 dst_sel:DWORD dst_unused:UNUSED_PAD src0_sel:DWORD src1_sel:WORD_1
	v_fma_f16 v245, v97, v42, -v204
	v_fmac_f16_e32 v242, v206, v42
	v_fma_f16 v168, v200, v38, -v70
	v_fma_f16 v169, v197, v39, -v94
	v_mul_f16_sdwa v70, v227, v28 dst_sel:DWORD dst_unused:UNUSED_PAD src0_sel:DWORD src1_sel:WORD_1
	v_mul_f16_sdwa v94, v228, v29 dst_sel:DWORD dst_unused:UNUSED_PAD src0_sel:DWORD src1_sel:WORD_1
	;; [unrolled: 1-line block ×4, first 2 shown]
	v_fma_f16 v162, v195, v37, -v95
	v_fma_f16 v224, v199, v28, -v70
	;; [unrolled: 1-line block ×3, first 2 shown]
	v_mul_f16_sdwa v70, v230, v31 dst_sel:DWORD dst_unused:UNUSED_PAD src0_sel:DWORD src1_sel:WORD_1
	s_waitcnt vmcnt(1)
	v_mul_f16_sdwa v94, v231, v24 dst_sel:DWORD dst_unused:UNUSED_PAD src0_sel:DWORD src1_sel:WORD_1
	v_mul_f16_sdwa v95, v229, v30 dst_sel:DWORD dst_unused:UNUSED_PAD src0_sel:DWORD src1_sel:WORD_1
	v_fma_f16 v243, v98, v43, -v243
	v_fmac_f16_e32 v246, v209, v43
	v_fma_f16 v226, v207, v31, -v70
	v_fma_f16 v207, v210, v24, -v94
	v_mul_f16_sdwa v94, v233, v26 dst_sel:DWORD dst_unused:UNUSED_PAD src0_sel:DWORD src1_sel:WORD_1
	v_mul_f16_sdwa v252, v99, v47 dst_sel:DWORD dst_unused:UNUSED_PAD src0_sel:DWORD src1_sel:WORD_1
	v_fmac_f16_e32 v139, v221, v35
	v_fma_f16 v221, v201, v30, -v95
	v_mul_f16_sdwa v95, v234, v27 dst_sel:DWORD dst_unused:UNUSED_PAD src0_sel:DWORD src1_sel:WORD_1
	v_fma_f16 v206, v215, v26, -v94
	s_waitcnt vmcnt(0)
	v_mul_f16_sdwa v94, v235, v20 dst_sel:DWORD dst_unused:UNUSED_PAD src0_sel:DWORD src1_sel:WORD_1
	v_mul_f16_sdwa v97, v238, v21 dst_sel:DWORD dst_unused:UNUSED_PAD src0_sel:DWORD src1_sel:WORD_1
	v_fmac_f16_e32 v241, v205, v41
	v_fmac_f16_e32 v248, v213, v45
	v_mul_f16_sdwa v251, v192, v46 dst_sel:DWORD dst_unused:UNUSED_PAD src0_sel:DWORD src1_sel:WORD_1
	v_fma_f16 v193, v211, v20, -v94
	v_add_f16_e32 v94, v244, v245
	v_fmac_f16_e32 v252, v217, v47
	v_mul_f16_sdwa v213, v199, v28 dst_sel:DWORD dst_unused:UNUSED_PAD src0_sel:DWORD src1_sel:WORD_1
	v_mul_f16_sdwa v217, v201, v30 dst_sel:DWORD dst_unused:UNUSED_PAD src0_sel:DWORD src1_sel:WORD_1
	v_mul_f16_sdwa v192, v210, v24 dst_sel:DWORD dst_unused:UNUSED_PAD src0_sel:DWORD src1_sel:WORD_1
	v_mul_f16_sdwa v70, v232, v25 dst_sel:DWORD dst_unused:UNUSED_PAD src0_sel:DWORD src1_sel:WORD_1
	v_fma_f16 v210, v208, v27, -v95
	v_mul_f16_sdwa v95, v96, v21 dst_sel:DWORD dst_unused:UNUSED_PAD src0_sel:DWORD src1_sel:WORD_1
	v_fma_f16 v97, v96, v21, -v97
	v_mul_f16_sdwa v96, v239, v22 dst_sel:DWORD dst_unused:UNUSED_PAD src0_sel:DWORD src1_sel:WORD_1
	v_fma_f16 v94, -0.5, v94, v75
	v_sub_f16_e32 v199, v237, v246
	v_add_f16_e32 v201, v236, v243
	v_fmac_f16_e32 v251, v214, v46
	v_mul_f16_sdwa v255, v101, v32 dst_sel:DWORD dst_unused:UNUSED_PAD src0_sel:DWORD src1_sel:WORD_1
	v_mul_f16_sdwa v166, v200, v38 dst_sel:DWORD dst_unused:UNUSED_PAD src0_sel:DWORD src1_sel:WORD_1
	;; [unrolled: 1-line block ×4, first 2 shown]
	v_fma_f16 v205, v203, v25, -v70
	v_mul_f16_sdwa v204, v208, v27 dst_sel:DWORD dst_unused:UNUSED_PAD src0_sel:DWORD src1_sel:WORD_1
	v_add_f16_e32 v100, v75, v236
	v_fma_f16 v196, v216, v22, -v96
	v_fmamk_f16 v96, v199, 0x3b9c, v94
	v_sub_f16_e32 v197, v241, v242
	v_sub_f16_e32 v101, v236, v244
	;; [unrolled: 1-line block ×3, first 2 shown]
	v_fma_f16 v75, -0.5, v201, v75
	v_fmac_f16_e32 v94, 0xbb9c, v199
	v_sub_f16_e32 v201, v244, v236
	v_sub_f16_e32 v202, v245, v243
	v_add_f16_e32 v203, v93, v237
	v_add_f16_e32 v208, v241, v242
	v_fmac_f16_e32 v96, 0x38b4, v197
	v_add_f16_e32 v200, v101, v200
	v_fmamk_f16 v101, v197, 0xbb9c, v75
	v_fmac_f16_e32 v94, 0xb8b4, v197
	v_add_f16_e32 v201, v201, v202
	v_fmac_f16_e32 v75, 0x3b9c, v197
	v_add_f16_e32 v202, v203, v241
	v_fma_f16 v197, -0.5, v208, v93
	v_sub_f16_e32 v208, v236, v243
	v_mul_f16_sdwa v70, v211, v20 dst_sel:DWORD dst_unused:UNUSED_PAD src0_sel:DWORD src1_sel:WORD_1
	v_fmac_f16_e32 v96, 0x34f2, v200
	v_fmac_f16_e32 v101, 0x38b4, v199
	;; [unrolled: 1-line block ×4, first 2 shown]
	v_add_f16_e32 v200, v202, v242
	v_fmamk_f16 v199, v208, 0xbb9c, v197
	v_add_f16_e32 v202, v237, v246
	v_sub_f16_e32 v203, v244, v245
	v_sub_f16_e32 v209, v237, v241
	;; [unrolled: 1-line block ×3, first 2 shown]
	v_fmac_f16_e32 v197, 0x3b9c, v208
	v_mul_f16_sdwa v195, v215, v26 dst_sel:DWORD dst_unused:UNUSED_PAD src0_sel:DWORD src1_sel:WORD_1
	v_mul_f16_sdwa v98, v216, v22 dst_sel:DWORD dst_unused:UNUSED_PAD src0_sel:DWORD src1_sel:WORD_1
	;; [unrolled: 1-line block ×3, first 2 shown]
	v_fmac_f16_e32 v93, -0.5, v202
	v_fmac_f16_e32 v199, 0xb8b4, v203
	v_add_f16_e32 v209, v209, v211
	v_sub_f16_e32 v202, v241, v237
	v_sub_f16_e32 v211, v242, v246
	v_add_f16_e32 v215, v250, v253
	v_fmac_f16_e32 v197, 0x38b4, v203
	v_add_f16_e32 v216, v76, v249
	v_mul_f16_sdwa v140, v198, v36 dst_sel:DWORD dst_unused:UNUSED_PAD src0_sel:DWORD src1_sel:WORD_1
	v_fma_f16 v198, v223, v23, -v99
	v_add_f16_e32 v99, v100, v244
	v_mul_f16_sdwa v100, v223, v23 dst_sel:DWORD dst_unused:UNUSED_PAD src0_sel:DWORD src1_sel:WORD_1
	v_fmac_f16_e32 v101, 0x34f2, v201
	v_fmac_f16_e32 v75, 0x34f2, v201
	v_fmamk_f16 v201, v203, 0x3b9c, v93
	v_fmac_f16_e32 v199, 0x34f2, v209
	v_add_f16_e32 v211, v202, v211
	v_fma_f16 v202, -0.5, v215, v76
	v_sub_f16_e32 v215, v247, v252
	v_fmac_f16_e32 v197, 0x34f2, v209
	v_fmac_f16_e32 v93, 0xbb9c, v203
	v_add_f16_e32 v209, v216, v250
	v_add_f16_e32 v223, v249, v212
	v_fmac_f16_e32 v255, v218, v32
	v_fmac_f16_e32 v140, v222, v36
	v_fmac_f16_e32 v201, 0xb8b4, v208
	v_fmamk_f16 v203, v215, 0x3b9c, v202
	v_sub_f16_e32 v216, v248, v251
	v_sub_f16_e32 v218, v249, v250
	;; [unrolled: 1-line block ×3, first 2 shown]
	v_fmac_f16_e32 v93, 0x38b4, v208
	v_add_f16_e32 v208, v209, v253
	v_fmac_f16_e32 v76, -0.5, v223
	v_fmac_f16_e32 v202, 0xbb9c, v215
	v_add_f16_e32 v223, v92, v247
	v_fmac_f16_e32 v166, v225, v38
	v_fmac_f16_e32 v201, 0x34f2, v211
	v_fmac_f16_e32 v203, 0x38b4, v216
	v_add_f16_e32 v218, v218, v222
	v_fmac_f16_e32 v93, 0x34f2, v211
	v_add_f16_e32 v209, v208, v212
	v_fmamk_f16 v208, v216, 0xbb9c, v76
	v_sub_f16_e32 v211, v250, v249
	v_sub_f16_e32 v222, v253, v212
	v_fmac_f16_e32 v202, 0xb8b4, v216
	v_add_f16_e32 v225, v248, v251
	v_fmac_f16_e32 v76, 0x3b9c, v216
	v_add_f16_e32 v216, v223, v248
	v_fmac_f16_e32 v213, v227, v28
	v_fmac_f16_e32 v203, 0x34f2, v218
	;; [unrolled: 1-line block ×3, first 2 shown]
	v_add_f16_e32 v222, v211, v222
	v_fma_f16 v211, -0.5, v225, v92
	v_sub_f16_e32 v223, v249, v212
	v_fmac_f16_e32 v202, 0x34f2, v218
	v_fmac_f16_e32 v76, 0xb8b4, v215
	v_add_f16_e32 v215, v216, v251
	v_add_f16_e32 v216, v247, v252
	v_sub_f16_e32 v218, v247, v248
	v_sub_f16_e32 v227, v252, v251
	v_fmac_f16_e32 v214, v228, v29
	v_fmac_f16_e32 v208, 0x34f2, v222
	v_fmamk_f16 v212, v223, 0xbb9c, v211
	v_sub_f16_e32 v225, v250, v253
	v_fmac_f16_e32 v76, 0x34f2, v222
	v_fmac_f16_e32 v92, -0.5, v216
	v_add_f16_e32 v222, v218, v227
	v_fmac_f16_e32 v211, 0x3b9c, v223
	v_sub_f16_e32 v218, v248, v247
	v_sub_f16_e32 v227, v251, v252
	v_add_f16_e32 v228, v136, v137
	v_fmac_f16_e32 v217, v229, v30
	v_fmac_f16_e32 v194, v232, v25
	v_add_f16_e32 v216, v215, v252
	v_fmac_f16_e32 v212, 0xb8b4, v225
	v_fmamk_f16 v215, v225, 0x3b9c, v92
	v_fmac_f16_e32 v211, 0x38b4, v225
	v_add_f16_e32 v227, v218, v227
	v_add_f16_e32 v229, v73, v254
	v_fma_f16 v218, -0.5, v228, v73
	v_sub_f16_e32 v228, v255, v139
	v_fmac_f16_e32 v92, 0xbb9c, v225
	v_add_f16_e32 v232, v254, v142
	v_fmac_f16_e32 v219, v230, v31
	v_fmac_f16_e32 v192, v231, v24
	;; [unrolled: 1-line block ×5, first 2 shown]
	v_add_f16_e32 v225, v229, v136
	v_fmamk_f16 v222, v228, 0x3b9c, v218
	v_sub_f16_e32 v229, v143, v57
	v_sub_f16_e32 v230, v254, v136
	;; [unrolled: 1-line block ×3, first 2 shown]
	v_fmac_f16_e32 v92, 0x38b4, v223
	v_fma_f16 v223, -0.5, v232, v73
	v_fmac_f16_e32 v218, 0xbb9c, v228
	v_add_f16_e32 v232, v91, v255
	v_fmac_f16_e32 v195, v233, v26
	v_fmac_f16_e32 v215, 0x34f2, v227
	v_add_f16_e32 v225, v225, v137
	v_fmac_f16_e32 v222, 0x38b4, v229
	v_add_f16_e32 v230, v230, v231
	v_fmac_f16_e32 v92, 0x34f2, v227
	v_fmamk_f16 v73, v229, 0xbb9c, v223
	v_sub_f16_e32 v227, v136, v254
	v_sub_f16_e32 v231, v137, v142
	v_fmac_f16_e32 v218, 0xb8b4, v229
	v_add_f16_e32 v233, v143, v57
	v_fmac_f16_e32 v223, 0x3b9c, v229
	v_add_f16_e32 v229, v232, v143
	v_add_f16_e32 v225, v225, v142
	v_fmac_f16_e32 v222, 0x34f2, v230
	v_add_f16_e32 v231, v227, v231
	v_fma_f16 v227, -0.5, v233, v91
	v_sub_f16_e32 v142, v254, v142
	v_fmac_f16_e32 v218, 0x34f2, v230
	v_add_f16_e32 v229, v229, v57
	v_add_f16_e32 v230, v255, v139
	v_sub_f16_e32 v136, v136, v137
	v_sub_f16_e32 v137, v255, v143
	;; [unrolled: 1-line block ×5, first 2 shown]
	v_fmac_f16_e32 v73, 0x38b4, v228
	v_fmac_f16_e32 v223, 0xb8b4, v228
	v_fmamk_f16 v228, v142, 0xbb9c, v227
	v_fmac_f16_e32 v91, -0.5, v230
	v_add_f16_e32 v229, v229, v139
	v_fmac_f16_e32 v227, 0x3b9c, v142
	v_add_f16_e32 v139, v162, v168
	v_add_f16_e32 v57, v143, v57
	;; [unrolled: 1-line block ×3, first 2 shown]
	v_fmac_f16_e32 v204, v234, v27
	v_fmac_f16_e32 v73, 0x34f2, v231
	;; [unrolled: 1-line block ×4, first 2 shown]
	v_add_f16_e32 v137, v137, v232
	v_fmamk_f16 v230, v136, 0x3b9c, v91
	v_fmac_f16_e32 v227, 0x38b4, v136
	v_fma_f16 v139, -0.5, v139, v74
	v_sub_f16_e32 v231, v140, v167
	v_fmac_f16_e32 v91, 0xbb9c, v136
	v_add_f16_e32 v136, v143, v162
	v_sub_f16_e32 v232, v161, v162
	v_sub_f16_e32 v233, v169, v168
	v_add_f16_e32 v234, v161, v169
	v_fmac_f16_e32 v70, v235, v20
	v_fmac_f16_e32 v228, 0x34f2, v137
	;; [unrolled: 1-line block ×4, first 2 shown]
	v_fmamk_f16 v137, v231, 0x3b9c, v139
	v_sub_f16_e32 v143, v163, v166
	v_fmac_f16_e32 v91, 0x38b4, v142
	v_add_f16_e32 v136, v136, v168
	v_add_f16_e32 v142, v232, v233
	v_fmac_f16_e32 v74, -0.5, v234
	v_fmac_f16_e32 v139, 0xbb9c, v231
	v_sub_f16_e32 v232, v162, v161
	v_sub_f16_e32 v233, v168, v169
	v_add_f16_e32 v234, v85, v140
	v_add_f16_e32 v235, v163, v166
	v_fmac_f16_e32 v230, 0x34f2, v57
	v_fmac_f16_e32 v137, 0x38b4, v143
	;; [unrolled: 1-line block ×3, first 2 shown]
	v_add_f16_e32 v57, v136, v169
	v_fmamk_f16 v136, v143, 0xbb9c, v74
	v_fmac_f16_e32 v139, 0xb8b4, v143
	v_add_f16_e32 v232, v232, v233
	v_fmac_f16_e32 v74, 0x3b9c, v143
	v_add_f16_e32 v143, v234, v163
	v_fma_f16 v233, -0.5, v235, v85
	v_sub_f16_e32 v161, v161, v169
	v_add_f16_e32 v169, v140, v167
	v_sub_f16_e32 v162, v162, v168
	v_sub_f16_e32 v168, v140, v163
	;; [unrolled: 1-line block ×4, first 2 shown]
	v_fmac_f16_e32 v137, 0x34f2, v142
	v_fmac_f16_e32 v136, 0x38b4, v231
	;; [unrolled: 1-line block ×4, first 2 shown]
	v_add_f16_e32 v142, v143, v166
	v_fmamk_f16 v143, v161, 0xbb9c, v233
	v_sub_f16_e32 v231, v167, v166
	v_fmac_f16_e32 v85, -0.5, v169
	v_fmac_f16_e32 v233, 0x3b9c, v161
	v_add_f16_e32 v166, v220, v221
	v_add_f16_e32 v140, v140, v163
	;; [unrolled: 1-line block ×4, first 2 shown]
	v_fmac_f16_e32 v143, 0xb8b4, v162
	v_add_f16_e32 v168, v168, v231
	v_fmamk_f16 v169, v162, 0x3b9c, v85
	v_fmac_f16_e32 v233, 0x38b4, v162
	v_fma_f16 v166, -0.5, v166, v71
	v_sub_f16_e32 v167, v213, v219
	v_fmac_f16_e32 v85, 0xbb9c, v162
	v_add_f16_e32 v162, v163, v220
	v_add_f16_e32 v234, v224, v226
	v_fmac_f16_e32 v136, 0x34f2, v232
	v_fmac_f16_e32 v74, 0x34f2, v232
	;; [unrolled: 1-line block ×5, first 2 shown]
	v_fmamk_f16 v163, v167, 0x3b9c, v166
	v_sub_f16_e32 v168, v214, v217
	v_sub_f16_e32 v231, v224, v220
	;; [unrolled: 1-line block ×3, first 2 shown]
	v_fmac_f16_e32 v85, 0x38b4, v161
	v_add_f16_e32 v161, v162, v221
	v_fma_f16 v71, -0.5, v234, v71
	v_fmac_f16_e32 v166, 0xbb9c, v167
	v_add_f16_e32 v234, v84, v213
	v_fmac_f16_e32 v169, 0x34f2, v140
	v_fmac_f16_e32 v163, 0x38b4, v168
	v_add_f16_e32 v162, v231, v232
	v_fmac_f16_e32 v85, 0x34f2, v140
	v_add_f16_e32 v140, v161, v226
	v_fmamk_f16 v161, v168, 0xbb9c, v71
	v_sub_f16_e32 v231, v220, v224
	v_sub_f16_e32 v232, v221, v226
	v_fmac_f16_e32 v166, 0xb8b4, v168
	v_add_f16_e32 v235, v214, v217
	v_fmac_f16_e32 v71, 0x3b9c, v168
	v_add_f16_e32 v168, v234, v214
	;; [unrolled: 2-line block ×3, first 2 shown]
	v_fma_f16 v232, -0.5, v235, v84
	v_sub_f16_e32 v224, v224, v226
	v_fmac_f16_e32 v166, 0x34f2, v162
	v_add_f16_e32 v162, v168, v217
	v_add_f16_e32 v168, v213, v219
	v_fmac_f16_e32 v161, 0x38b4, v167
	v_fmac_f16_e32 v71, 0xb8b4, v167
	v_fmamk_f16 v167, v224, 0xbb9c, v232
	v_sub_f16_e32 v220, v220, v221
	v_sub_f16_e32 v221, v213, v214
	;; [unrolled: 1-line block ×3, first 2 shown]
	v_fmac_f16_e32 v84, -0.5, v168
	v_fmac_f16_e32 v232, 0x3b9c, v224
	v_sub_f16_e32 v213, v214, v213
	v_sub_f16_e32 v214, v217, v219
	v_add_f16_e32 v217, v205, v206
	v_add_f16_e32 v162, v162, v219
	v_fmac_f16_e32 v167, 0xb8b4, v220
	v_add_f16_e32 v168, v221, v226
	v_fmamk_f16 v221, v220, 0x3b9c, v84
	v_fmac_f16_e32 v232, 0x38b4, v220
	v_add_f16_e32 v213, v213, v214
	v_add_f16_e32 v214, v72, v207
	v_fma_f16 v217, -0.5, v217, v72
	v_sub_f16_e32 v219, v192, v204
	v_fmac_f16_e32 v84, 0xbb9c, v220
	v_add_f16_e32 v234, v207, v210
	v_fmac_f16_e32 v161, 0x34f2, v231
	v_fmac_f16_e32 v71, 0x34f2, v231
	v_fmac_f16_e32 v167, 0x34f2, v168
	v_fmac_f16_e32 v221, 0xb8b4, v224
	v_fmac_f16_e32 v232, 0x34f2, v168
	v_add_f16_e32 v168, v214, v205
	v_fmamk_f16 v214, v219, 0x3b9c, v217
	v_sub_f16_e32 v220, v194, v195
	v_sub_f16_e32 v226, v207, v205
	;; [unrolled: 1-line block ×3, first 2 shown]
	v_fmac_f16_e32 v84, 0x38b4, v224
	v_fmac_f16_e32 v72, -0.5, v234
	v_fmac_f16_e32 v217, 0xbb9c, v219
	v_add_f16_e32 v234, v83, v192
	v_fmac_f16_e32 v221, 0x34f2, v213
	v_add_f16_e32 v168, v168, v206
	;; [unrolled: 2-line block ×3, first 2 shown]
	v_fmac_f16_e32 v84, 0x34f2, v213
	v_fmamk_f16 v213, v220, 0xbb9c, v72
	v_sub_f16_e32 v226, v205, v207
	v_sub_f16_e32 v231, v206, v210
	v_fmac_f16_e32 v217, 0xb8b4, v220
	v_add_f16_e32 v235, v194, v195
	v_fmac_f16_e32 v72, 0x3b9c, v220
	v_add_f16_e32 v220, v234, v194
	v_add_f16_e32 v168, v168, v210
	;; [unrolled: 1-line block ×3, first 2 shown]
	v_fma_f16 v231, -0.5, v235, v83
	v_sub_f16_e32 v207, v207, v210
	v_add_f16_e32 v210, v220, v195
	v_add_f16_e32 v220, v192, v204
	v_fmac_f16_e32 v100, v240, v23
	v_fmac_f16_e32 v214, 0x34f2, v224
	;; [unrolled: 1-line block ×5, first 2 shown]
	v_fmamk_f16 v219, v207, 0xbb9c, v231
	v_sub_f16_e32 v205, v205, v206
	v_sub_f16_e32 v206, v192, v194
	;; [unrolled: 1-line block ×3, first 2 shown]
	v_fmac_f16_e32 v83, -0.5, v220
	v_fmac_f16_e32 v231, 0x3b9c, v207
	v_sub_f16_e32 v192, v194, v192
	v_sub_f16_e32 v194, v195, v204
	v_add_f16_e32 v195, v97, v196
	v_fmac_f16_e32 v95, v238, v21
	v_fmac_f16_e32 v98, v239, v22
	v_add_f16_e32 v210, v210, v204
	v_fmac_f16_e32 v219, 0xb8b4, v205
	v_add_f16_e32 v206, v206, v224
	v_fmamk_f16 v220, v205, 0x3b9c, v83
	v_fmac_f16_e32 v231, 0x38b4, v205
	v_add_f16_e32 v192, v192, v194
	v_fmac_f16_e32 v83, 0xbb9c, v205
	v_add_f16_e32 v204, v69, v193
	v_fma_f16 v194, -0.5, v195, v69
	v_sub_f16_e32 v205, v70, v100
	v_fmac_f16_e32 v219, 0x34f2, v206
	v_fmac_f16_e32 v220, 0xb8b4, v207
	;; [unrolled: 1-line block ×4, first 2 shown]
	v_add_f16_e32 v195, v204, v97
	v_fmamk_f16 v204, v205, 0x3b9c, v194
	v_sub_f16_e32 v206, v95, v98
	v_sub_f16_e32 v207, v193, v97
	;; [unrolled: 1-line block ×3, first 2 shown]
	v_fmac_f16_e32 v194, 0xbb9c, v205
	v_fmac_f16_e32 v213, 0x34f2, v226
	;; [unrolled: 1-line block ×3, first 2 shown]
	v_add_f16_e32 v226, v193, v198
	v_fmac_f16_e32 v204, 0x38b4, v206
	v_add_f16_e32 v207, v207, v224
	v_fmac_f16_e32 v194, 0xb8b4, v206
	v_add_f16_e32 v195, v195, v196
	v_fmac_f16_e32 v69, -0.5, v226
	v_sub_f16_e32 v226, v196, v198
	v_fmac_f16_e32 v204, 0x34f2, v207
	v_fmac_f16_e32 v194, 0x34f2, v207
	v_sub_f16_e32 v207, v97, v193
	v_fmac_f16_e32 v220, 0x34f2, v192
	v_fmac_f16_e32 v83, 0x34f2, v192
	v_add_f16_e32 v224, v195, v198
	v_fmamk_f16 v192, v206, 0xbb9c, v69
	v_add_f16_e32 v195, v95, v98
	v_fmac_f16_e32 v69, 0x3b9c, v206
	v_add_f16_e32 v206, v191, v70
	v_sub_f16_e32 v198, v193, v198
	v_add_f16_e32 v193, v207, v226
	v_add_f16_e32 v207, v70, v100
	v_fma_f16 v195, -0.5, v195, v191
	v_fmac_f16_e32 v192, 0x38b4, v205
	v_fmac_f16_e32 v69, 0xb8b4, v205
	v_add_f16_e32 v205, v206, v95
	v_sub_f16_e32 v97, v97, v196
	v_fmac_f16_e32 v191, -0.5, v207
	v_fmac_f16_e32 v192, 0x34f2, v193
	v_fmac_f16_e32 v69, 0x34f2, v193
	v_add_f16_e32 v196, v205, v98
	v_sub_f16_e32 v205, v70, v95
	v_fmamk_f16 v193, v97, 0x3b9c, v191
	v_sub_f16_e32 v70, v95, v70
	v_sub_f16_e32 v95, v98, v100
	v_fmac_f16_e32 v191, 0xbb9c, v97
	v_add_f16_e32 v99, v99, v245
	v_fmac_f16_e32 v193, 0xb8b4, v198
	v_add_f16_e32 v200, v200, v246
	v_add_f16_e32 v70, v70, v95
	v_fmac_f16_e32 v191, 0x38b4, v198
	v_add_f16_e32 v99, v99, v243
	v_fmamk_f16 v206, v198, 0xbb9c, v195
	v_fmac_f16_e32 v195, 0x3b9c, v198
	v_fmac_f16_e32 v193, 0x34f2, v70
	;; [unrolled: 1-line block ×3, first 2 shown]
	v_pack_b32_f16 v70, v96, v199
	v_pack_b32_f16 v96, v101, v201
	v_fmac_f16_e32 v206, 0xb8b4, v97
	v_fmac_f16_e32 v195, 0x38b4, v97
	v_pack_b32_f16 v97, v99, v200
	v_pack_b32_f16 v75, v75, v93
	ds_write_b32 v102, v70 offset:1568
	ds_write_b32 v102, v96 offset:3136
	v_pack_b32_f16 v70, v209, v216
	v_pack_b32_f16 v93, v94, v197
	ds_write_b32 v102, v75 offset:4704
	ds_write_b32 v102, v93 offset:6272
	v_pack_b32_f16 v75, v208, v215
	ds_write2_b32 v102, v97, v70 offset1:56
	v_pack_b32_f16 v70, v202, v211
	v_pack_b32_f16 v76, v76, v92
	;; [unrolled: 1-line block ×3, first 2 shown]
	ds_write_b32 v102, v75 offset:3360
	ds_write_b32 v102, v76 offset:4928
	v_pack_b32_f16 v75, v222, v228
	ds_write_b32 v102, v70 offset:6496
	v_pack_b32_f16 v70, v225, v229
	v_pack_b32_f16 v76, v223, v91
	;; [unrolled: 1-line block ×4, first 2 shown]
	ds_write2_b32 v89, v92, v75 offset0:192 offset1:248
	v_pack_b32_f16 v73, v73, v230
	ds_write_b32 v102, v76 offset:5152
	ds_write_b32 v102, v91 offset:6720
	v_pack_b32_f16 v75, v136, v169
	ds_write2_b32 v102, v70, v57 offset0:112 offset1:168
	v_pack_b32_f16 v57, v74, v85
	v_pack_b32_f16 v70, v139, v233
	v_sub_f16_e32 v207, v100, v98
	v_pack_b32_f16 v74, v137, v143
	ds_write2_b32 v86, v73, v75 offset0:128 offset1:184
	v_pack_b32_f16 v73, v163, v167
	ds_write_b32 v102, v57 offset:5376
	ds_write_b32 v102, v70 offset:6944
	v_pack_b32_f16 v70, v71, v84
	v_add_f16_e32 v98, v205, v207
	v_pack_b32_f16 v71, v161, v221
	ds_write2_b32 v80, v74, v73 offset0:48 offset1:104
	v_pack_b32_f16 v73, v166, v232
	ds_write_b32 v102, v70 offset:5600
	v_pack_b32_f16 v70, v213, v220
	v_add_f16_e32 v95, v196, v100
	v_pack_b32_f16 v57, v140, v162
	v_pack_b32_f16 v74, v168, v210
	v_pack_b32_f16 v72, v72, v83
	v_fmac_f16_e32 v206, 0x34f2, v98
	ds_write_b32 v102, v73 offset:7168
	ds_write2_b32 v77, v57, v74 offset0:96 offset1:152
	ds_write2_b32 v78, v71, v70 offset0:112 offset1:168
	ds_write_b32 v102, v72 offset:5824
	v_pack_b32_f16 v70, v217, v231
	v_pack_b32_f16 v71, v224, v95
	v_fmac_f16_e32 v195, 0x34f2, v98
	v_pack_b32_f16 v57, v214, v219
	v_pack_b32_f16 v72, v204, v206
	v_pack_b32_f16 v73, v192, v193
	v_pack_b32_f16 v74, v69, v191
	ds_write_b32 v102, v70 offset:7392
	ds_write_b32 v102, v71 offset:1344
	ds_write2_b32 v80, v57, v72 offset0:160 offset1:216
	ds_write_b32 v102, v73 offset:4480
	ds_write_b32 v102, v74 offset:6048
	v_add_co_u32 v70, s1, 0x1800, v81
	v_pack_b32_f16 v57, v194, v195
	v_add_co_ci_u32_e64 v71, s1, 0, v82, s1
	ds_write_b32 v102, v57 offset:7616
	s_waitcnt lgkmcnt(0)
	s_barrier
	buffer_gl0_inv
	global_load_dword v57, v[70:71], off offset:1696
	v_add_co_u32 v70, s1, 0x1ea0, v81
	v_add_co_ci_u32_e64 v71, s1, 0, v82, s1
	v_add_co_u32 v72, s1, 0x2800, v81
	v_add_co_ci_u32_e64 v73, s1, 0, v82, s1
	global_load_dword v76, v[70:71], off offset:1960
	v_add_co_u32 v74, s1, 0x3000, v81
	v_add_co_ci_u32_e64 v75, s1, 0, v82, s1
	s_clause 0x1
	global_load_dword v85, v[72:73], off offset:1520
	global_load_dword v93, v[74:75], off offset:1432
	v_add_co_u32 v83, s1, 0x2000, v81
	v_add_co_ci_u32_e64 v84, s1, 0, v82, s1
	s_clause 0x4
	global_load_dword v94, v[70:71], off offset:224
	global_load_dword v95, v[83:84], off offset:1832
	;; [unrolled: 1-line block ×5, first 2 shown]
	v_add_co_u32 v81, s1, 0x3800, v81
	v_add_co_ci_u32_e64 v82, s1, 0, v82, s1
	s_clause 0x16
	global_load_dword v99, v[72:73], off offset:8
	global_load_dword v100, v[72:73], off offset:1968
	;; [unrolled: 1-line block ×23, first 2 shown]
	ds_read2_b32 v[72:73], v102 offset1:56
	s_waitcnt lgkmcnt(0)
	v_lshrrev_b32_e32 v74, 16, v72
	s_waitcnt vmcnt(31)
	v_mul_f16_sdwa v75, v74, v57 dst_sel:DWORD dst_unused:UNUSED_PAD src0_sel:DWORD src1_sel:WORD_1
	v_mul_f16_sdwa v81, v72, v57 dst_sel:DWORD dst_unused:UNUSED_PAD src0_sel:DWORD src1_sel:WORD_1
	v_fma_f16 v72, v72, v57, -v75
	v_fmac_f16_e32 v81, v74, v57
	v_pack_b32_f16 v57, v72, v81
	v_add_nc_u32_e32 v72, 0x600, v102
	ds_write_b32 v102, v57
	ds_read2_b32 v[74:75], v72 offset0:106 offset1:162
	ds_read2_b32 v[81:82], v78 offset0:84 offset1:140
	;; [unrolled: 1-line block ×3, first 2 shown]
	s_waitcnt vmcnt(27)
	v_mul_f16_sdwa v206, v73, v94 dst_sel:DWORD dst_unused:UNUSED_PAD src0_sel:DWORD src1_sel:WORD_1
	s_waitcnt lgkmcnt(2)
	v_lshrrev_b32_e32 v57, 16, v74
	v_mul_f16_sdwa v92, v74, v76 dst_sel:DWORD dst_unused:UNUSED_PAD src0_sel:DWORD src1_sel:WORD_1
	s_waitcnt lgkmcnt(1)
	v_lshrrev_b32_e32 v203, 16, v81
	s_waitcnt lgkmcnt(0)
	v_lshrrev_b32_e32 v204, 16, v83
	s_waitcnt vmcnt(26)
	v_mul_f16_sdwa v208, v75, v95 dst_sel:DWORD dst_unused:UNUSED_PAD src0_sel:DWORD src1_sel:WORD_1
	v_mul_f16_sdwa v91, v57, v76 dst_sel:DWORD dst_unused:UNUSED_PAD src0_sel:DWORD src1_sel:WORD_1
	v_fmac_f16_e32 v92, v57, v76
	v_mul_f16_sdwa v57, v203, v85 dst_sel:DWORD dst_unused:UNUSED_PAD src0_sel:DWORD src1_sel:WORD_1
	v_fma_f16 v74, v74, v76, -v91
	v_mul_f16_sdwa v76, v81, v85 dst_sel:DWORD dst_unused:UNUSED_PAD src0_sel:DWORD src1_sel:WORD_1
	v_mul_f16_sdwa v91, v204, v93 dst_sel:DWORD dst_unused:UNUSED_PAD src0_sel:DWORD src1_sel:WORD_1
	v_fma_f16 v57, v81, v85, -v57
	v_pack_b32_f16 v205, v74, v92
	v_lshrrev_b32_e32 v74, 16, v73
	v_fmac_f16_e32 v76, v203, v85
	v_lshrrev_b32_e32 v85, 16, v75
	v_fma_f16 v81, v83, v93, -v91
	ds_read2_b32 v[91:92], v102 offset0:112 offset1:168
	v_mul_f16_sdwa v83, v83, v93 dst_sel:DWORD dst_unused:UNUSED_PAD src0_sel:DWORD src1_sel:WORD_1
	v_mul_f16_sdwa v203, v74, v94 dst_sel:DWORD dst_unused:UNUSED_PAD src0_sel:DWORD src1_sel:WORD_1
	;; [unrolled: 1-line block ×3, first 2 shown]
	v_fmac_f16_e32 v206, v74, v94
	v_fmac_f16_e32 v208, v85, v95
	;; [unrolled: 1-line block ×3, first 2 shown]
	v_fma_f16 v93, v73, v94, -v203
	v_fma_f16 v75, v75, v95, -v207
	ds_read2_b32 v[73:74], v80 offset0:90 offset1:146
	v_pack_b32_f16 v57, v57, v76
	v_pack_b32_f16 v85, v81, v83
	v_lshrrev_b32_e32 v81, 16, v82
	v_pack_b32_f16 v95, v75, v208
	ds_read2_b32 v[75:76], v88 offset0:68 offset1:124
	v_pack_b32_f16 v83, v93, v206
	v_lshrrev_b32_e32 v203, 16, v84
	ds_read2_b32 v[93:94], v90 offset0:46 offset1:102
	s_waitcnt vmcnt(25)
	v_mul_f16_sdwa v204, v81, v96 dst_sel:DWORD dst_unused:UNUSED_PAD src0_sel:DWORD src1_sel:WORD_1
	v_mul_f16_sdwa v206, v82, v96 dst_sel:DWORD dst_unused:UNUSED_PAD src0_sel:DWORD src1_sel:WORD_1
	s_waitcnt lgkmcnt(3)
	v_lshrrev_b32_e32 v208, 16, v91
	s_waitcnt vmcnt(24)
	v_mul_f16_sdwa v207, v203, v97 dst_sel:DWORD dst_unused:UNUSED_PAD src0_sel:DWORD src1_sel:WORD_1
	v_fma_f16 v82, v82, v96, -v204
	v_mul_f16_sdwa v204, v84, v97 dst_sel:DWORD dst_unused:UNUSED_PAD src0_sel:DWORD src1_sel:WORD_1
	v_fmac_f16_e32 v206, v81, v96
	v_fma_f16 v81, v84, v97, -v207
	s_waitcnt vmcnt(23)
	v_mul_f16_sdwa v84, v208, v98 dst_sel:DWORD dst_unused:UNUSED_PAD src0_sel:DWORD src1_sel:WORD_1
	v_mul_f16_sdwa v96, v91, v98 dst_sel:DWORD dst_unused:UNUSED_PAD src0_sel:DWORD src1_sel:WORD_1
	v_fmac_f16_e32 v204, v203, v97
	s_waitcnt lgkmcnt(2)
	v_lshrrev_b32_e32 v97, 16, v73
	v_pack_b32_f16 v203, v82, v206
	v_fma_f16 v82, v91, v98, -v84
	v_fmac_f16_e32 v96, v208, v98
	v_pack_b32_f16 v84, v81, v204
	s_waitcnt vmcnt(22)
	v_mul_f16_sdwa v81, v97, v99 dst_sel:DWORD dst_unused:UNUSED_PAD src0_sel:DWORD src1_sel:WORD_1
	v_mul_f16_sdwa v91, v73, v99 dst_sel:DWORD dst_unused:UNUSED_PAD src0_sel:DWORD src1_sel:WORD_1
	s_waitcnt lgkmcnt(1)
	v_lshrrev_b32_e32 v98, 16, v75
	v_pack_b32_f16 v82, v82, v96
	s_waitcnt lgkmcnt(0)
	v_lshrrev_b32_e32 v96, 16, v93
	v_fma_f16 v73, v73, v99, -v81
	v_fmac_f16_e32 v91, v97, v99
	s_waitcnt vmcnt(21)
	v_mul_f16_sdwa v81, v98, v100 dst_sel:DWORD dst_unused:UNUSED_PAD src0_sel:DWORD src1_sel:WORD_1
	v_mul_f16_sdwa v97, v75, v100 dst_sel:DWORD dst_unused:UNUSED_PAD src0_sel:DWORD src1_sel:WORD_1
	s_waitcnt vmcnt(15)
	v_mul_f16_sdwa v99, v96, v142 dst_sel:DWORD dst_unused:UNUSED_PAD src0_sel:DWORD src1_sel:WORD_1
	v_mul_f16_sdwa v204, v93, v142 dst_sel:DWORD dst_unused:UNUSED_PAD src0_sel:DWORD src1_sel:WORD_1
	v_pack_b32_f16 v73, v73, v91
	v_fma_f16 v75, v75, v100, -v81
	v_fmac_f16_e32 v97, v98, v100
	v_fma_f16 v81, v93, v142, -v99
	v_fmac_f16_e32 v204, v96, v142
	ds_write2_b32 v102, v83, v82 offset0:56 offset1:112
	ds_write2_b32 v80, v95, v73 offset0:34 offset1:90
	v_lshrrev_b32_e32 v83, 16, v92
	v_pack_b32_f16 v91, v75, v97
	v_lshrrev_b32_e32 v75, 16, v74
	v_pack_b32_f16 v93, v81, v204
	ds_read2_b32 v[81:82], v77 offset0:96 offset1:152
	s_waitcnt vmcnt(14)
	v_mul_f16_sdwa v97, v92, v143 dst_sel:DWORD dst_unused:UNUSED_PAD src0_sel:DWORD src1_sel:WORD_1
	s_waitcnt vmcnt(13)
	v_mul_f16_sdwa v99, v74, v161 dst_sel:DWORD dst_unused:UNUSED_PAD src0_sel:DWORD src1_sel:WORD_1
	v_mul_f16_sdwa v98, v75, v161 dst_sel:DWORD dst_unused:UNUSED_PAD src0_sel:DWORD src1_sel:WORD_1
	v_add_nc_u32_e32 v73, 0xa00, v102
	v_mul_f16_sdwa v96, v83, v143 dst_sel:DWORD dst_unused:UNUSED_PAD src0_sel:DWORD src1_sel:WORD_1
	v_add_nc_u32_e32 v95, 0x1600, v102
	v_fmac_f16_e32 v97, v83, v143
	v_fma_f16 v83, v74, v161, -v98
	v_fmac_f16_e32 v99, v75, v161
	ds_read2_b32 v[74:75], v73 offset0:74 offset1:130
	v_fma_f16 v92, v92, v143, -v96
	ds_write2_b32 v88, v203, v91 offset0:12 offset1:68
	ds_write2_b32 v95, v84, v93 offset0:118 offset1:174
	v_lshrrev_b32_e32 v93, 16, v76
	v_pack_b32_f16 v96, v83, v99
	ds_read2_b32 v[83:84], v88 offset0:180 offset1:236
	v_pack_b32_f16 v95, v92, v97
	v_lshrrev_b32_e32 v97, 16, v94
	ds_read2_b32 v[91:92], v90 offset0:158 offset1:214
	s_waitcnt vmcnt(12)
	v_mul_f16_sdwa v98, v93, v162 dst_sel:DWORD dst_unused:UNUSED_PAD src0_sel:DWORD src1_sel:WORD_1
	v_mul_f16_sdwa v99, v76, v162 dst_sel:DWORD dst_unused:UNUSED_PAD src0_sel:DWORD src1_sel:WORD_1
	s_waitcnt lgkmcnt(5)
	v_lshrrev_b32_e32 v142, 16, v81
	v_mul_f16_sdwa v100, v97, v101 dst_sel:DWORD dst_unused:UNUSED_PAD src0_sel:DWORD src1_sel:WORD_1
	v_fma_f16 v76, v76, v162, -v98
	v_mul_f16_sdwa v98, v94, v101 dst_sel:DWORD dst_unused:UNUSED_PAD src0_sel:DWORD src1_sel:WORD_1
	v_fmac_f16_e32 v99, v93, v162
	v_fma_f16 v93, v94, v101, -v100
	s_waitcnt vmcnt(11)
	v_mul_f16_sdwa v94, v142, v163 dst_sel:DWORD dst_unused:UNUSED_PAD src0_sel:DWORD src1_sel:WORD_1
	v_mul_f16_sdwa v100, v81, v163 dst_sel:DWORD dst_unused:UNUSED_PAD src0_sel:DWORD src1_sel:WORD_1
	v_fmac_f16_e32 v98, v97, v101
	s_waitcnt lgkmcnt(4)
	v_lshrrev_b32_e32 v97, 16, v74
	v_pack_b32_f16 v76, v76, v99
	v_fma_f16 v81, v81, v163, -v94
	v_fmac_f16_e32 v100, v142, v163
	v_pack_b32_f16 v98, v93, v98
	s_waitcnt vmcnt(10)
	v_mul_f16_sdwa v93, v97, v166 dst_sel:DWORD dst_unused:UNUSED_PAD src0_sel:DWORD src1_sel:WORD_1
	v_mul_f16_sdwa v94, v74, v166 dst_sel:DWORD dst_unused:UNUSED_PAD src0_sel:DWORD src1_sel:WORD_1
	s_waitcnt lgkmcnt(1)
	v_lshrrev_b32_e32 v99, 16, v83
	v_pack_b32_f16 v81, v81, v100
	s_waitcnt lgkmcnt(0)
	v_lshrrev_b32_e32 v100, 16, v91
	v_fma_f16 v74, v74, v166, -v93
	v_fmac_f16_e32 v94, v97, v166
	s_waitcnt vmcnt(9)
	v_mul_f16_sdwa v93, v99, v167 dst_sel:DWORD dst_unused:UNUSED_PAD src0_sel:DWORD src1_sel:WORD_1
	v_mul_f16_sdwa v97, v83, v167 dst_sel:DWORD dst_unused:UNUSED_PAD src0_sel:DWORD src1_sel:WORD_1
	;; [unrolled: 1-line block ×4, first 2 shown]
	v_pack_b32_f16 v74, v74, v94
	v_fma_f16 v83, v83, v167, -v93
	v_fmac_f16_e32 v97, v99, v167
	v_fma_f16 v91, v91, v136, -v101
	v_fmac_f16_e32 v142, v100, v136
	v_lshrrev_b32_e32 v99, 16, v82
	ds_write2_b32 v102, v95, v81 offset0:168 offset1:224
	ds_write2_b32 v80, v96, v74 offset0:146 offset1:202
	v_pack_b32_f16 v74, v83, v97
	ds_read2_b32 v[93:94], v89 offset0:80 offset1:136
	v_pack_b32_f16 v81, v91, v142
	s_waitcnt vmcnt(8)
	v_mul_f16_sdwa v83, v99, v168 dst_sel:DWORD dst_unused:UNUSED_PAD src0_sel:DWORD src1_sel:WORD_1
	v_lshrrev_b32_e32 v91, 16, v75
	ds_write2_b32 v88, v76, v74 offset0:124 offset1:180
	ds_write2_b32 v90, v98, v81 offset0:102 offset1:158
	v_lshrrev_b32_e32 v95, 16, v84
	v_fma_f16 v76, v82, v168, -v83
	v_mul_f16_sdwa v83, v82, v168 dst_sel:DWORD dst_unused:UNUSED_PAD src0_sel:DWORD src1_sel:WORD_1
	s_waitcnt vmcnt(7)
	v_mul_f16_sdwa v74, v91, v169 dst_sel:DWORD dst_unused:UNUSED_PAD src0_sel:DWORD src1_sel:WORD_1
	ds_read2_b32 v[81:82], v86 offset0:58 offset1:114
	v_mul_f16_sdwa v96, v75, v169 dst_sel:DWORD dst_unused:UNUSED_PAD src0_sel:DWORD src1_sel:WORD_1
	s_waitcnt vmcnt(6)
	v_mul_f16_sdwa v98, v95, v196 dst_sel:DWORD dst_unused:UNUSED_PAD src0_sel:DWORD src1_sel:WORD_1
	v_fmac_f16_e32 v83, v99, v168
	v_fma_f16 v97, v75, v169, -v74
	ds_read2_b32 v[74:75], v87 offset0:36 offset1:92
	v_mul_f16_sdwa v99, v84, v196 dst_sel:DWORD dst_unused:UNUSED_PAD src0_sel:DWORD src1_sel:WORD_1
	v_fmac_f16_e32 v96, v91, v169
	v_pack_b32_f16 v76, v76, v83
	v_fma_f16 v91, v84, v196, -v98
	ds_read2_b32 v[83:84], v190 offset0:14 offset1:70
	v_fmac_f16_e32 v99, v95, v196
	v_lshrrev_b32_e32 v95, 16, v92
	v_pack_b32_f16 v96, v97, v96
	s_waitcnt lgkmcnt(5)
	v_lshrrev_b32_e32 v97, 16, v93
	s_waitcnt vmcnt(5)
	v_mul_f16_sdwa v101, v93, v197 dst_sel:DWORD dst_unused:UNUSED_PAD src0_sel:DWORD src1_sel:WORD_1
	v_pack_b32_f16 v91, v91, v99
	v_mul_f16_sdwa v98, v95, v137 dst_sel:DWORD dst_unused:UNUSED_PAD src0_sel:DWORD src1_sel:WORD_1
	v_mul_f16_sdwa v99, v92, v137 dst_sel:DWORD dst_unused:UNUSED_PAD src0_sel:DWORD src1_sel:WORD_1
	;; [unrolled: 1-line block ×3, first 2 shown]
	s_waitcnt lgkmcnt(2)
	v_lshrrev_b32_e32 v136, 16, v81
	v_fmac_f16_e32 v101, v97, v197
	v_fma_f16 v92, v92, v137, -v98
	v_fmac_f16_e32 v99, v95, v137
	v_fma_f16 v93, v93, v197, -v100
	s_waitcnt vmcnt(4)
	v_mul_f16_sdwa v95, v136, v198 dst_sel:DWORD dst_unused:UNUSED_PAD src0_sel:DWORD src1_sel:WORD_1
	s_waitcnt lgkmcnt(1)
	v_lshrrev_b32_e32 v98, 16, v74
	v_mul_f16_sdwa v97, v81, v198 dst_sel:DWORD dst_unused:UNUSED_PAD src0_sel:DWORD src1_sel:WORD_1
	v_pack_b32_f16 v92, v92, v99
	s_waitcnt vmcnt(3)
	v_mul_f16_sdwa v99, v74, v199 dst_sel:DWORD dst_unused:UNUSED_PAD src0_sel:DWORD src1_sel:WORD_1
	v_fma_f16 v81, v81, v198, -v95
	v_mul_f16_sdwa v95, v98, v199 dst_sel:DWORD dst_unused:UNUSED_PAD src0_sel:DWORD src1_sel:WORD_1
	v_pack_b32_f16 v93, v93, v101
	v_fmac_f16_e32 v97, v136, v198
	s_waitcnt lgkmcnt(0)
	v_lshrrev_b32_e32 v100, 16, v83
	v_fmac_f16_e32 v99, v98, v199
	v_fma_f16 v74, v74, v199, -v95
	ds_write2_b32 v89, v76, v93 offset0:24 offset1:80
	v_pack_b32_f16 v76, v81, v97
	v_mul_f16_sdwa v81, v100, v139 dst_sel:DWORD dst_unused:UNUSED_PAD src0_sel:DWORD src1_sel:WORD_1
	v_mul_f16_sdwa v93, v83, v139 dst_sel:DWORD dst_unused:UNUSED_PAD src0_sel:DWORD src1_sel:WORD_1
	v_pack_b32_f16 v74, v74, v99
	v_mul_f16_sdwa v97, v84, v140 dst_sel:DWORD dst_unused:UNUSED_PAD src0_sel:DWORD src1_sel:WORD_1
	ds_write2_b32 v86, v96, v76 offset0:2 offset1:58
	v_fma_f16 v81, v83, v139, -v81
	v_fmac_f16_e32 v93, v100, v139
	v_lshrrev_b32_e32 v83, 16, v82
	v_lshrrev_b32_e32 v76, 16, v94
	ds_write2_b32 v79, v91, v74 offset0:108 offset1:164
	s_waitcnt vmcnt(2)
	v_mul_f16_sdwa v74, v94, v200 dst_sel:DWORD dst_unused:UNUSED_PAD src0_sel:DWORD src1_sel:WORD_1
	v_pack_b32_f16 v79, v81, v93
	s_waitcnt vmcnt(1)
	v_mul_f16_sdwa v81, v83, v201 dst_sel:DWORD dst_unused:UNUSED_PAD src0_sel:DWORD src1_sel:WORD_1
	v_mul_f16_sdwa v95, v76, v200 dst_sel:DWORD dst_unused:UNUSED_PAD src0_sel:DWORD src1_sel:WORD_1
	v_lshrrev_b32_e32 v93, 16, v75
	v_fmac_f16_e32 v74, v76, v200
	v_lshrrev_b32_e32 v76, 16, v84
	v_fma_f16 v81, v82, v201, -v81
	v_mul_f16_sdwa v82, v82, v201 dst_sel:DWORD dst_unused:UNUSED_PAD src0_sel:DWORD src1_sel:WORD_1
	v_fma_f16 v91, v94, v200, -v95
	s_waitcnt vmcnt(0)
	v_mul_f16_sdwa v94, v93, v202 dst_sel:DWORD dst_unused:UNUSED_PAD src0_sel:DWORD src1_sel:WORD_1
	v_mul_f16_sdwa v95, v75, v202 dst_sel:DWORD dst_unused:UNUSED_PAD src0_sel:DWORD src1_sel:WORD_1
	;; [unrolled: 1-line block ×3, first 2 shown]
	v_fmac_f16_e32 v82, v83, v201
	v_fmac_f16_e32 v97, v76, v140
	v_fma_f16 v75, v75, v202, -v94
	v_fmac_f16_e32 v95, v93, v202
	v_fma_f16 v83, v84, v140, -v96
	v_add_nc_u32_e32 v76, 0x1a00, v102
	v_pack_b32_f16 v74, v91, v74
	v_pack_b32_f16 v81, v81, v82
	;; [unrolled: 1-line block ×4, first 2 shown]
	ds_write2_b32 v76, v92, v79 offset0:86 offset1:142
	ds_write2_b32 v89, v74, v205 offset0:136 offset1:234
	;; [unrolled: 1-line block ×4, first 2 shown]
	ds_write_b32 v102, v82 offset:7448
	s_and_saveexec_b32 s2, vcc_lo
	s_cbranch_execz .LBB0_15
; %bb.14:
	v_add_co_u32 v74, s1, 0x800, v70
	v_add_co_ci_u32_e64 v75, s1, 0, v71, s1
	v_add_co_u32 v81, s1, 0x1000, v70
	global_load_dword v57, v[70:71], off offset:1792
	v_add_co_ci_u32_e64 v82, s1, 0, v71, s1
	v_add_co_u32 v70, s1, 0x1800, v70
	v_add_co_ci_u32_e64 v71, s1, 0, v71, s1
	s_clause 0x2
	global_load_dword v74, v[74:75], off offset:1704
	global_load_dword v75, v[81:82], off offset:1616
	global_load_dword v70, v[70:71], off offset:1528
	ds_read_b32 v71, v102 offset:1792
	ds_read_b32 v76, v102 offset:3752
	;; [unrolled: 1-line block ×4, first 2 shown]
	s_waitcnt lgkmcnt(3)
	v_lshrrev_b32_e32 v82, 16, v71
	s_waitcnt lgkmcnt(2)
	v_lshrrev_b32_e32 v85, 16, v76
	;; [unrolled: 2-line block ×4, first 2 shown]
	s_waitcnt vmcnt(3)
	v_mul_f16_sdwa v83, v82, v57 dst_sel:DWORD dst_unused:UNUSED_PAD src0_sel:DWORD src1_sel:WORD_1
	v_mul_f16_sdwa v84, v71, v57 dst_sel:DWORD dst_unused:UNUSED_PAD src0_sel:DWORD src1_sel:WORD_1
	v_fma_f16 v71, v71, v57, -v83
	v_fmac_f16_e32 v84, v82, v57
	s_waitcnt vmcnt(2)
	v_mul_f16_sdwa v57, v85, v74 dst_sel:DWORD dst_unused:UNUSED_PAD src0_sel:DWORD src1_sel:WORD_1
	v_mul_f16_sdwa v82, v76, v74 dst_sel:DWORD dst_unused:UNUSED_PAD src0_sel:DWORD src1_sel:WORD_1
	s_waitcnt vmcnt(1)
	v_mul_f16_sdwa v83, v91, v75 dst_sel:DWORD dst_unused:UNUSED_PAD src0_sel:DWORD src1_sel:WORD_1
	v_mul_f16_sdwa v93, v79, v75 dst_sel:DWORD dst_unused:UNUSED_PAD src0_sel:DWORD src1_sel:WORD_1
	s_waitcnt vmcnt(0)
	v_mul_f16_sdwa v94, v92, v70 dst_sel:DWORD dst_unused:UNUSED_PAD src0_sel:DWORD src1_sel:WORD_1
	v_mul_f16_sdwa v95, v81, v70 dst_sel:DWORD dst_unused:UNUSED_PAD src0_sel:DWORD src1_sel:WORD_1
	v_fma_f16 v57, v76, v74, -v57
	v_fmac_f16_e32 v82, v85, v74
	v_fma_f16 v74, v79, v75, -v83
	v_fmac_f16_e32 v93, v91, v75
	;; [unrolled: 2-line block ×3, first 2 shown]
	v_pack_b32_f16 v70, v71, v84
	v_pack_b32_f16 v57, v57, v82
	;; [unrolled: 1-line block ×4, first 2 shown]
	ds_write_b32 v102, v70 offset:1792
	ds_write_b32 v102, v57 offset:3752
	;; [unrolled: 1-line block ×4, first 2 shown]
.LBB0_15:
	s_or_b32 exec_lo, exec_lo, s2
	s_waitcnt lgkmcnt(0)
	s_barrier
	buffer_gl0_inv
	ds_read2_b32 v[82:83], v102 offset1:56
	ds_read2_b32 v[84:85], v72 offset0:106 offset1:162
	ds_read2_b32 v[98:99], v78 offset0:84 offset1:140
	;; [unrolled: 1-line block ×15, first 2 shown]
	s_and_saveexec_b32 s1, vcc_lo
	s_cbranch_execz .LBB0_17
; %bb.16:
	ds_read_b32 v192, v102 offset:1792
	ds_read_b32 v69, v102 offset:3752
	ds_read_b32 v194, v102 offset:5712
	ds_read_b32 v188, v102 offset:7672
	s_waitcnt lgkmcnt(3)
	v_lshrrev_b32_e32 v193, 16, v192
	s_waitcnt lgkmcnt(2)
	v_lshrrev_b32_e32 v191, 16, v69
	;; [unrolled: 2-line block ×4, first 2 shown]
.LBB0_17:
	s_or_b32 exec_lo, exec_lo, s1
	s_waitcnt lgkmcnt(5)
	v_pk_add_f16 v190, v74, v92 neg_lo:[0,1] neg_hi:[0,1]
	v_pk_add_f16 v95, v79, v95 neg_lo:[0,1] neg_hi:[0,1]
	s_waitcnt lgkmcnt(4)
	v_pk_add_f16 v197, v76, v90 neg_lo:[0,1] neg_hi:[0,1]
	v_pk_add_f16 v57, v82, v98 neg_lo:[0,1] neg_hi:[0,1]
	v_pk_add_f16 v100, v84, v100 neg_lo:[0,1] neg_hi:[0,1]
	v_lshrrev_b32_e32 v90, 16, v190
	v_pk_add_f16 v167, v81, v97 neg_lo:[0,1] neg_hi:[0,1]
	v_lshrrev_b32_e32 v92, 16, v95
	s_waitcnt lgkmcnt(1)
	v_pk_add_f16 v208, v70, v88 neg_lo:[0,1] neg_hi:[0,1]
	v_lshrrev_b32_e32 v98, 16, v57
	v_sub_f16_e32 v202, v90, v197
	v_add_f16_sdwa v137, v57, v100 dst_sel:DWORD dst_unused:UNUSED_PAD src0_sel:DWORD src1_sel:WORD_1
	v_sub_f16_e32 v198, v92, v167
	s_waitcnt lgkmcnt(0)
	v_pk_add_f16 v209, v72, v86 neg_lo:[0,1] neg_hi:[0,1]
	v_pk_add_f16 v211, v71, v89 neg_lo:[0,1] neg_hi:[0,1]
	v_fma_f16 v206, v90, 2.0, -v202
	v_lshrrev_b32_e32 v90, 16, v208
	v_pk_add_f16 v99, v83, v99 neg_lo:[0,1] neg_hi:[0,1]
	v_pk_add_f16 v101, v85, v101 neg_lo:[0,1] neg_hi:[0,1]
	v_sub_f16_e32 v140, v98, v100
	v_fma_f16 v161, v57, 2.0, -v137
	v_fma_f16 v204, v92, 2.0, -v198
	v_pk_add_f16 v214, v73, v87 neg_lo:[0,1] neg_hi:[0,1]
	v_lshrrev_b32_e32 v92, 16, v211
	v_sub_f16_e32 v216, v90, v209
	v_pk_fma_f16 v57, v82, 2.0, v57 op_sel_hi:[1,0,1] neg_lo:[0,0,1] neg_hi:[0,0,1]
	v_pk_fma_f16 v82, v84, 2.0, v100 op_sel_hi:[1,0,1] neg_lo:[0,0,1] neg_hi:[0,0,1]
	v_fma_f16 v163, v98, 2.0, -v140
	v_add_f16_sdwa v196, v95, v167 dst_sel:DWORD dst_unused:UNUSED_PAD src0_sel:DWORD src1_sel:WORD_1
	v_sub_f16_e32 v219, v92, v214
	v_sub_f16_e32 v89, v69, v188
	v_fma_f16 v188, v90, 2.0, -v216
	v_pk_fma_f16 v90, v83, 2.0, v99 op_sel_hi:[1,0,1] neg_lo:[0,0,1] neg_hi:[0,0,1]
	v_pk_fma_f16 v83, v85, 2.0, v101 op_sel_hi:[1,0,1] neg_lo:[0,0,1] neg_hi:[0,0,1]
	v_pk_add_f16 v84, v57, v82 neg_lo:[0,1] neg_hi:[0,1]
	v_fma_f16 v199, v95, 2.0, -v196
	v_sub_f16_e32 v86, v192, v194
	v_fma_f16 v194, v92, 2.0, -v219
	v_pk_add_f16 v92, v90, v83 neg_lo:[0,1] neg_hi:[0,1]
	v_pk_fma_f16 v82, v57, 2.0, v84 op_sel_hi:[1,0,1] neg_lo:[0,0,1] neg_hi:[0,0,1]
	v_pack_b32_f16 v85, v137, v140
	v_pack_b32_f16 v83, v161, v163
	v_pk_fma_f16 v57, v79, 2.0, v95 op_sel_hi:[1,0,1] neg_lo:[0,0,1] neg_hi:[0,0,1]
	v_lshlrev_b32_e32 v95, 4, v133
	s_barrier
	buffer_gl0_inv
	v_lshrrev_b32_e32 v136, 16, v99
	ds_write_b128 v95, v[82:85]
	buffer_load_dword v82, off, s[20:23], 0 offset:4 ; 4-byte Folded Reload
	v_pk_add_f16 v201, v75, v93 neg_lo:[0,1] neg_hi:[0,1]
	v_add_f16_sdwa v139, v99, v101 dst_sel:DWORD dst_unused:UNUSED_PAD src0_sel:DWORD src1_sel:WORD_1
	v_sub_f16_e32 v143, v136, v101
	v_pk_add_f16 v203, v77, v91 neg_lo:[0,1] neg_hi:[0,1]
	v_pk_fma_f16 v90, v90, 2.0, v92 op_sel_hi:[1,0,1] neg_lo:[0,0,1] neg_hi:[0,0,1]
	v_lshrrev_b32_e32 v91, 16, v201
	v_fma_f16 v162, v99, 2.0, -v139
	v_fma_f16 v136, v136, 2.0, -v143
	v_pack_b32_f16 v93, v139, v143
	v_pk_add_f16 v94, v78, v94 neg_lo:[0,1] neg_hi:[0,1]
	v_sub_f16_e32 v210, v91, v203
	v_pk_add_f16 v96, v80, v96 neg_lo:[0,1] neg_hi:[0,1]
	v_add_f16_sdwa v200, v190, v197 dst_sel:DWORD dst_unused:UNUSED_PAD src0_sel:DWORD src1_sel:WORD_1
	v_pk_fma_f16 v74, v74, 2.0, v190 op_sel_hi:[1,0,1] neg_lo:[0,0,1] neg_hi:[0,0,1]
	v_lshrrev_b32_e32 v142, 16, v94
	v_fma_f16 v215, v91, 2.0, -v210
	v_pack_b32_f16 v91, v162, v136
	v_add_f16_sdwa v166, v94, v96 dst_sel:DWORD dst_unused:UNUSED_PAD src0_sel:DWORD src1_sel:WORD_1
	v_pk_fma_f16 v78, v78, 2.0, v94 op_sel_hi:[1,0,1] neg_lo:[0,0,1] neg_hi:[0,0,1]
	v_sub_f16_e32 v168, v142, v96
	v_pk_fma_f16 v80, v80, 2.0, v96 op_sel_hi:[1,0,1] neg_lo:[0,0,1] neg_hi:[0,0,1]
	v_pk_fma_f16 v76, v76, 2.0, v197 op_sel_hi:[1,0,1] neg_lo:[0,0,1] neg_hi:[0,0,1]
	v_fma_f16 v169, v94, 2.0, -v166
	v_pk_fma_f16 v94, v81, 2.0, v167 op_sel_hi:[1,0,1] neg_lo:[0,0,1] neg_hi:[0,0,1]
	v_fma_f16 v142, v142, 2.0, -v168
	v_pk_add_f16 v80, v78, v80 neg_lo:[0,1] neg_hi:[0,1]
	v_pack_b32_f16 v81, v166, v168
	v_fma_f16 v205, v190, 2.0, -v200
	v_pk_add_f16 v94, v57, v94 neg_lo:[0,1] neg_hi:[0,1]
	v_pack_b32_f16 v79, v169, v142
	v_pk_fma_f16 v78, v78, 2.0, v80 op_sel_hi:[1,0,1] neg_lo:[0,0,1] neg_hi:[0,0,1]
	v_pk_add_f16 v76, v74, v76 neg_lo:[0,1] neg_hi:[0,1]
	v_pack_b32_f16 v95, v196, v198
	v_add_f16_sdwa v207, v201, v203 dst_sel:DWORD dst_unused:UNUSED_PAD src0_sel:DWORD src1_sel:WORD_1
	v_add_f16_sdwa v213, v208, v209 dst_sel:DWORD dst_unused:UNUSED_PAD src0_sel:DWORD src1_sel:WORD_1
	;; [unrolled: 1-line block ×3, first 2 shown]
	v_pk_fma_f16 v74, v74, 2.0, v76 op_sel_hi:[1,0,1] neg_lo:[0,0,1] neg_hi:[0,0,1]
	v_sub_f16_e32 v87, v193, v195
	v_fma_f16 v212, v201, 2.0, -v207
	v_fma_f16 v217, v208, 2.0, -v213
	v_sub_f16_e32 v88, v191, v189
	v_fma_f16 v189, v211, 2.0, -v218
	v_sub_f16_e32 v98, v87, v89
	v_pack_b32_f16 v85, v218, v219
	v_add_f16_e32 v97, v88, v86
	v_pack_b32_f16 v83, v189, v194
	s_waitcnt vmcnt(0)
	ds_write_b128 v82, v[90:93]
	buffer_load_dword v82, off, s[20:23], 0 offset:12 ; 4-byte Folded Reload
	v_pk_fma_f16 v92, v57, 2.0, v94 op_sel_hi:[1,0,1] neg_lo:[0,0,1] neg_hi:[0,0,1]
	v_pk_fma_f16 v57, v75, 2.0, v201 op_sel_hi:[1,0,1] neg_lo:[0,0,1] neg_hi:[0,0,1]
	;; [unrolled: 1-line block ×3, first 2 shown]
	v_pack_b32_f16 v93, v199, v204
	v_pack_b32_f16 v77, v200, v202
	s_waitcnt vmcnt(0)
	ds_write_b128 v82, v[78:81]
	v_pk_fma_f16 v78, v70, 2.0, v208 op_sel_hi:[1,0,1] neg_lo:[0,0,1] neg_hi:[0,0,1]
	v_pk_fma_f16 v70, v72, 2.0, v209 op_sel_hi:[1,0,1] neg_lo:[0,0,1] neg_hi:[0,0,1]
	v_pk_add_f16 v72, v57, v75 neg_lo:[0,1] neg_hi:[0,1]
	v_pack_b32_f16 v75, v205, v206
	v_pk_fma_f16 v82, v71, 2.0, v211 op_sel_hi:[1,0,1] neg_lo:[0,0,1] neg_hi:[0,0,1]
	v_pk_fma_f16 v71, v73, 2.0, v214 op_sel_hi:[1,0,1] neg_lo:[0,0,1] neg_hi:[0,0,1]
	v_pk_add_f16 v80, v78, v70 neg_lo:[0,1] neg_hi:[0,1]
	v_pk_fma_f16 v70, v57, 2.0, v72 op_sel_hi:[1,0,1] neg_lo:[0,0,1] neg_hi:[0,0,1]
	buffer_load_dword v57, off, s[20:23], 0 ; 4-byte Folded Reload
	v_pack_b32_f16 v73, v207, v210
	v_pk_add_f16 v84, v82, v71 neg_lo:[0,1] neg_hi:[0,1]
	v_pack_b32_f16 v71, v212, v215
	v_pk_fma_f16 v78, v78, 2.0, v80 op_sel_hi:[1,0,1] neg_lo:[0,0,1] neg_hi:[0,0,1]
	v_pack_b32_f16 v81, v213, v216
	v_pack_b32_f16 v79, v217, v188
	v_pk_fma_f16 v82, v82, 2.0, v84 op_sel_hi:[1,0,1] neg_lo:[0,0,1] neg_hi:[0,0,1]
	s_waitcnt vmcnt(0)
	ds_write_b128 v57, v[92:95]
	ds_write_b128 v138, v[74:77]
	buffer_load_dword v57, off, s[20:23], 0 offset:8 ; 4-byte Folded Reload
	s_waitcnt vmcnt(0)
	ds_write_b128 v57, v[70:73]
	ds_write_b128 v141, v[78:81]
	buffer_load_dword v57, off, s[20:23], 0 offset:16 ; 4-byte Folded Reload
	s_waitcnt vmcnt(0)
	ds_write_b128 v57, v[82:85]
	s_and_saveexec_b32 s1, vcc_lo
	s_cbranch_execz .LBB0_19
; %bb.18:
	v_fma_f16 v57, v192, 2.0, -v86
	v_fma_f16 v69, v69, 2.0, -v89
	;; [unrolled: 1-line block ×6, first 2 shown]
	v_sub_f16_e32 v69, v57, v69
	v_sub_f16_e32 v71, v70, v71
	v_fma_f16 v57, v57, 2.0, -v69
	v_fma_f16 v74, v70, 2.0, -v71
	v_pack_b32_f16 v70, v72, v73
	v_pack_b32_f16 v71, v69, v71
	v_perm_b32 v72, v98, v97, 0x5040100
	v_pack_b32_f16 v69, v57, v74
	v_lshlrev_b32_e32 v57, 4, v56
	ds_write_b128 v57, v[69:72]
.LBB0_19:
	s_or_b32 exec_lo, exec_lo, s1
	v_add_nc_u32_e32 v73, 0x200, v102
	v_add_nc_u32_e32 v57, 0x800, v102
	;; [unrolled: 1-line block ×3, first 2 shown]
	s_waitcnt lgkmcnt(0)
	s_barrier
	buffer_gl0_inv
	v_add_nc_u32_e32 v74, 0x1000, v102
	ds_read2_b32 v[69:70], v73 offset0:96 offset1:152
	ds_read2_b32 v[76:77], v57 offset0:48 offset1:104
	;; [unrolled: 1-line block ×3, first 2 shown]
	v_add_nc_u32_e32 v83, 0x1400, v102
	v_add_nc_u32_e32 v82, 0x1800, v102
	;; [unrolled: 1-line block ×3, first 2 shown]
	ds_read2_b32 v[85:86], v74 offset0:96 offset1:152
	ds_read2_b32 v[87:88], v83 offset0:64 offset1:120
	;; [unrolled: 1-line block ×6, first 2 shown]
	ds_read2_b32 v[100:101], v102 offset1:56
	v_add_nc_u32_e32 v75, 0x1200, v102
	v_add_nc_u32_e32 v99, 0x1c00, v102
	ds_read2_b32 v[136:137], v57 offset0:160 offset1:216
	ds_read2_b32 v[138:139], v75 offset0:80 offset1:136
	ds_read2_b32 v[140:141], v99 offset1:56
	ds_read2_b32 v[142:143], v84 offset0:192 offset1:248
	v_add_nc_u32_e32 v71, 0xe00, v102
	ds_read2_b32 v[190:191], v82 offset0:32 offset1:88
	ds_read_b32 v195, v102 offset:7616
	s_waitcnt lgkmcnt(15)
	v_lshrrev_b32_e32 v80, 16, v70
	s_waitcnt lgkmcnt(14)
	v_lshrrev_b32_e32 v161, 16, v76
	;; [unrolled: 2-line block ×3, first 2 shown]
	v_mul_f16_sdwa v216, v0, v70 dst_sel:DWORD dst_unused:UNUSED_PAD src0_sel:WORD_1 src1_sel:DWORD
	v_mul_f16_sdwa v218, v1, v76 dst_sel:DWORD dst_unused:UNUSED_PAD src0_sel:WORD_1 src1_sel:DWORD
	s_waitcnt lgkmcnt(11)
	v_lshrrev_b32_e32 v166, 16, v88
	v_lshrrev_b32_e32 v163, 16, v85
	v_mul_f16_sdwa v215, v0, v80 dst_sel:DWORD dst_unused:UNUSED_PAD src0_sel:WORD_1 src1_sel:DWORD
	v_mul_f16_sdwa v217, v1, v161 dst_sel:DWORD dst_unused:UNUSED_PAD src0_sel:WORD_1 src1_sel:DWORD
	;; [unrolled: 1-line block ×3, first 2 shown]
	s_waitcnt lgkmcnt(10)
	v_lshrrev_b32_e32 v167, 16, v89
	s_waitcnt lgkmcnt(9)
	v_lshrrev_b32_e32 v168, 16, v91
	v_lshrrev_b32_e32 v169, 16, v77
	v_fmac_f16_e32 v215, v0, v70
	v_fma_f16 v70, v0, v80, -v216
	v_fmac_f16_e32 v217, v1, v76
	v_fma_f16 v76, v1, v161, -v218
	v_fmac_f16_e32 v219, v2, v79
	v_mul_f16_sdwa v79, v2, v79 dst_sel:DWORD dst_unused:UNUSED_PAD src0_sel:WORD_1 src1_sel:DWORD
	v_mul_f16_sdwa v80, v3, v163 dst_sel:DWORD dst_unused:UNUSED_PAD src0_sel:WORD_1 src1_sel:DWORD
	;; [unrolled: 1-line block ×5, first 2 shown]
	s_waitcnt lgkmcnt(8)
	v_lshrrev_b32_e32 v192, 16, v93
	v_lshrrev_b32_e32 v193, 16, v86
	v_fma_f16 v79, v2, v162, -v79
	v_fmac_f16_e32 v80, v3, v85
	v_fma_f16 v85, v3, v163, -v161
	v_fmac_f16_e32 v216, v59, v88
	v_fma_f16 v88, v59, v166, -v218
	v_mul_f16_sdwa v161, v60, v167 dst_sel:DWORD dst_unused:UNUSED_PAD src0_sel:WORD_1 src1_sel:DWORD
	v_mul_f16_sdwa v162, v60, v89 dst_sel:DWORD dst_unused:UNUSED_PAD src0_sel:WORD_1 src1_sel:DWORD
	;; [unrolled: 1-line block ×5, first 2 shown]
	ds_read2_b32 v[188:189], v71 offset0:112 offset1:168
	s_waitcnt lgkmcnt(8)
	v_lshrrev_b32_e32 v194, 16, v95
	v_lshrrev_b32_e32 v196, 16, v90
	;; [unrolled: 1-line block ×3, first 2 shown]
	v_fmac_f16_e32 v161, v60, v89
	v_fma_f16 v89, v60, v167, -v162
	v_fmac_f16_e32 v163, v0, v91
	v_fma_f16 v91, v0, v168, -v166
	v_fmac_f16_e32 v218, v1, v77
	v_mul_f16_sdwa v77, v1, v77 dst_sel:DWORD dst_unused:UNUSED_PAD src0_sel:WORD_1 src1_sel:DWORD
	v_mul_f16_sdwa v162, v2, v192 dst_sel:DWORD dst_unused:UNUSED_PAD src0_sel:WORD_1 src1_sel:DWORD
	;; [unrolled: 1-line block ×5, first 2 shown]
	s_waitcnt lgkmcnt(6)
	v_lshrrev_b32_e32 v198, 16, v136
	v_lshrrev_b32_e32 v199, 16, v94
	v_fma_f16 v77, v1, v169, -v77
	v_fmac_f16_e32 v162, v2, v93
	v_fma_f16 v93, v2, v192, -v166
	v_fmac_f16_e32 v167, v3, v86
	v_fma_f16 v86, v3, v193, -v168
	v_mul_f16_sdwa v166, v59, v194 dst_sel:DWORD dst_unused:UNUSED_PAD src0_sel:WORD_1 src1_sel:DWORD
	v_mul_f16_sdwa v168, v59, v95 dst_sel:DWORD dst_unused:UNUSED_PAD src0_sel:WORD_1 src1_sel:DWORD
	;; [unrolled: 1-line block ×5, first 2 shown]
	s_waitcnt lgkmcnt(5)
	v_lshrrev_b32_e32 v200, 16, v138
	v_lshrrev_b32_e32 v201, 16, v96
	s_waitcnt lgkmcnt(4)
	v_lshrrev_b32_e32 v202, 16, v140
	v_fmac_f16_e32 v166, v59, v95
	v_fma_f16 v95, v59, v194, -v168
	v_fmac_f16_e32 v169, v60, v90
	v_fma_f16 v90, v60, v196, -v192
	v_fmac_f16_e32 v193, v0, v92
	v_mul_f16_sdwa v92, v0, v92 dst_sel:DWORD dst_unused:UNUSED_PAD src0_sel:WORD_1 src1_sel:DWORD
	v_mul_f16_sdwa v168, v1, v198 dst_sel:DWORD dst_unused:UNUSED_PAD src0_sel:WORD_1 src1_sel:DWORD
	;; [unrolled: 1-line block ×5, first 2 shown]
	s_waitcnt lgkmcnt(3)
	v_lshrrev_b32_e32 v203, 16, v142
	v_lshrrev_b32_e32 v204, 16, v137
	v_fma_f16 v92, v0, v197, -v92
	v_fmac_f16_e32 v168, v1, v136
	v_fma_f16 v136, v1, v198, -v192
	v_fmac_f16_e32 v194, v2, v94
	v_fma_f16 v94, v2, v199, -v196
	v_mul_f16_sdwa v192, v3, v200 dst_sel:DWORD dst_unused:UNUSED_PAD src0_sel:WORD_1 src1_sel:DWORD
	v_mul_f16_sdwa v196, v3, v138 dst_sel:DWORD dst_unused:UNUSED_PAD src0_sel:WORD_1 src1_sel:DWORD
	;; [unrolled: 1-line block ×5, first 2 shown]
	s_waitcnt lgkmcnt(0)
	v_lshrrev_b32_e32 v205, 16, v188
	v_lshrrev_b32_e32 v206, 16, v139
	v_fmac_f16_e32 v192, v3, v138
	v_fma_f16 v138, v3, v200, -v196
	v_fmac_f16_e32 v197, v59, v96
	v_fma_f16 v96, v59, v201, -v198
	v_fmac_f16_e32 v199, v60, v140
	v_mul_f16_sdwa v140, v60, v140 dst_sel:DWORD dst_unused:UNUSED_PAD src0_sel:WORD_1 src1_sel:DWORD
	v_mul_f16_sdwa v196, v0, v203 dst_sel:DWORD dst_unused:UNUSED_PAD src0_sel:WORD_1 src1_sel:DWORD
	;; [unrolled: 1-line block ×5, first 2 shown]
	v_lshrrev_b32_e32 v207, 16, v190
	v_lshrrev_b32_e32 v208, 16, v141
	v_lshrrev_b32_e32 v209, 16, v143
	v_fma_f16 v140, v60, v202, -v140
	v_fmac_f16_e32 v196, v0, v142
	v_fma_f16 v142, v0, v203, -v198
	v_fmac_f16_e32 v200, v1, v137
	v_fma_f16 v137, v1, v204, -v201
	v_mul_f16_sdwa v198, v2, v205 dst_sel:DWORD dst_unused:UNUSED_PAD src0_sel:WORD_1 src1_sel:DWORD
	v_mul_f16_sdwa v201, v2, v188 dst_sel:DWORD dst_unused:UNUSED_PAD src0_sel:WORD_1 src1_sel:DWORD
	;; [unrolled: 1-line block ×4, first 2 shown]
	v_lshrrev_b32_e32 v210, 16, v78
	v_lshrrev_b32_e32 v211, 16, v189
	v_lshrrev_b32_e32 v212, 16, v87
	v_mul_f16_sdwa v204, v59, v207 dst_sel:DWORD dst_unused:UNUSED_PAD src0_sel:WORD_1 src1_sel:DWORD
	v_fmac_f16_e32 v198, v2, v188
	v_fma_f16 v188, v2, v205, -v201
	v_fmac_f16_e32 v202, v3, v139
	v_fma_f16 v139, v3, v206, -v203
	v_mul_f16_sdwa v201, v60, v208 dst_sel:DWORD dst_unused:UNUSED_PAD src0_sel:WORD_1 src1_sel:DWORD
	v_mul_f16_sdwa v203, v60, v141 dst_sel:DWORD dst_unused:UNUSED_PAD src0_sel:WORD_1 src1_sel:DWORD
	;; [unrolled: 1-line block ×4, first 2 shown]
	v_lshrrev_b32_e32 v213, 16, v191
	v_fmac_f16_e32 v204, v59, v190
	v_mul_f16_sdwa v190, v59, v190 dst_sel:DWORD dst_unused:UNUSED_PAD src0_sel:WORD_1 src1_sel:DWORD
	v_fmac_f16_e32 v201, v60, v141
	v_fma_f16 v141, v60, v208, -v203
	v_fmac_f16_e32 v205, v0, v143
	v_fma_f16 v0, v0, v209, -v206
	v_mul_f16_sdwa v143, v1, v210 dst_sel:DWORD dst_unused:UNUSED_PAD src0_sel:WORD_1 src1_sel:DWORD
	v_mul_f16_sdwa v206, v2, v211 dst_sel:DWORD dst_unused:UNUSED_PAD src0_sel:WORD_1 src1_sel:DWORD
	;; [unrolled: 1-line block ×3, first 2 shown]
	v_lshrrev_b32_e32 v214, 16, v195
	v_fma_f16 v190, v59, v207, -v190
	v_mul_f16_sdwa v203, v1, v78 dst_sel:DWORD dst_unused:UNUSED_PAD src0_sel:WORD_1 src1_sel:DWORD
	v_mul_f16_sdwa v207, v2, v189 dst_sel:DWORD dst_unused:UNUSED_PAD src0_sel:WORD_1 src1_sel:DWORD
	v_fmac_f16_e32 v143, v1, v78
	v_fmac_f16_e32 v206, v2, v189
	;; [unrolled: 1-line block ×3, first 2 shown]
	v_mul_f16_sdwa v78, v3, v87 dst_sel:DWORD dst_unused:UNUSED_PAD src0_sel:WORD_1 src1_sel:DWORD
	v_mul_f16_sdwa v87, v59, v213 dst_sel:DWORD dst_unused:UNUSED_PAD src0_sel:WORD_1 src1_sel:DWORD
	;; [unrolled: 1-line block ×3, first 2 shown]
	v_fma_f16 v1, v1, v210, -v203
	v_fma_f16 v2, v2, v211, -v207
	v_mul_f16_sdwa v203, v60, v214 dst_sel:DWORD dst_unused:UNUSED_PAD src0_sel:WORD_1 src1_sel:DWORD
	v_mul_f16_sdwa v207, v60, v195 dst_sel:DWORD dst_unused:UNUSED_PAD src0_sel:WORD_1 src1_sel:DWORD
	v_fma_f16 v3, v3, v212, -v78
	v_fmac_f16_e32 v87, v59, v191
	v_fma_f16 v59, v59, v213, -v189
	v_add_f16_e32 v78, v215, v161
	v_add_f16_e32 v189, v70, v89
	v_sub_f16_e32 v70, v70, v89
	v_add_f16_e32 v89, v217, v216
	v_add_f16_e32 v191, v76, v88
	v_fmac_f16_e32 v203, v60, v195
	v_fma_f16 v60, v60, v214, -v207
	v_sub_f16_e32 v161, v215, v161
	v_sub_f16_e32 v195, v217, v216
	v_sub_f16_e32 v76, v76, v88
	v_add_f16_e32 v88, v219, v80
	v_add_f16_e32 v207, v79, v85
	v_sub_f16_e32 v80, v80, v219
	v_sub_f16_e32 v79, v85, v79
	v_add_f16_e32 v85, v89, v78
	v_add_f16_e32 v209, v191, v189
	v_sub_f16_e32 v210, v89, v78
	v_sub_f16_e32 v211, v191, v189
	;; [unrolled: 1-line block ×6, first 2 shown]
	v_add_f16_e32 v212, v80, v195
	v_add_f16_e32 v213, v79, v76
	v_sub_f16_e32 v214, v80, v195
	v_sub_f16_e32 v215, v79, v76
	;; [unrolled: 1-line block ×3, first 2 shown]
	v_add_f16_e32 v85, v88, v85
	v_add_f16_e32 v88, v207, v209
	v_sub_f16_e32 v76, v76, v70
	v_sub_f16_e32 v80, v161, v80
	;; [unrolled: 1-line block ×3, first 2 shown]
	v_add_f16_e32 v161, v212, v161
	v_add_f16_e32 v70, v213, v70
	v_add_f16_e32 v207, v100, v85
	v_add_f16_sdwa v209, v100, v88 dst_sel:DWORD dst_unused:UNUSED_PAD src0_sel:WORD_1 src1_sel:DWORD
	v_mul_f16_e32 v78, 0x3a52, v78
	v_mul_f16_e32 v100, 0x3a52, v189
	v_mul_f16_e32 v189, 0x2b26, v89
	v_mul_f16_e32 v212, 0x2b26, v191
	v_mul_f16_e32 v213, 0x3846, v214
	v_mul_f16_e32 v214, 0x3846, v215
	v_mul_f16_e32 v215, 0xbb00, v195
	v_mul_f16_e32 v216, 0xbb00, v76
	v_fmamk_f16 v85, v85, 0xbcab, v207
	v_fmamk_f16 v88, v88, 0xbcab, v209
	;; [unrolled: 1-line block ×4, first 2 shown]
	v_fma_f16 v189, v210, 0x39e0, -v189
	v_fma_f16 v212, v211, 0x39e0, -v212
	;; [unrolled: 1-line block ×4, first 2 shown]
	v_fmamk_f16 v210, v80, 0xb574, v213
	v_fmamk_f16 v211, v79, 0xb574, v214
	v_fma_f16 v80, v80, 0x3574, -v215
	v_fma_f16 v79, v79, 0x3574, -v216
	;; [unrolled: 1-line block ×4, first 2 shown]
	v_add_f16_e32 v89, v89, v85
	v_add_f16_e32 v189, v189, v85
	v_add_f16_e32 v78, v78, v85
	v_add_f16_e32 v85, v100, v88
	v_fmac_f16_e32 v211, 0xb70e, v70
	v_fmac_f16_e32 v79, 0xb70e, v70
	v_fmac_f16_e32 v80, 0xb70e, v161
	v_add_f16_e32 v191, v191, v88
	v_fmac_f16_e32 v210, 0xb70e, v161
	v_fmac_f16_e32 v195, 0xb70e, v161
	;; [unrolled: 1-line block ×3, first 2 shown]
	v_add_f16_e32 v70, v211, v89
	v_add_f16_e32 v161, v79, v78
	v_sub_f16_e32 v213, v85, v80
	v_sub_f16_e32 v78, v78, v79
	v_add_f16_e32 v79, v80, v85
	v_sub_f16_e32 v80, v89, v211
	v_add_f16_e32 v89, v163, v169
	v_add_f16_e32 v100, v91, v90
	v_sub_f16_e32 v163, v163, v169
	v_sub_f16_e32 v90, v91, v90
	v_add_f16_e32 v91, v218, v166
	v_add_f16_e32 v169, v77, v95
	;; [unrolled: 1-line block ×3, first 2 shown]
	v_sub_f16_e32 v88, v191, v210
	v_add_f16_e32 v85, v210, v191
	v_sub_f16_e32 v166, v218, v166
	v_sub_f16_e32 v77, v77, v95
	v_add_f16_e32 v95, v162, v167
	v_add_f16_e32 v191, v93, v86
	v_sub_f16_e32 v162, v167, v162
	v_sub_f16_e32 v86, v86, v93
	v_add_f16_e32 v93, v91, v89
	v_add_f16_e32 v167, v169, v100
	v_sub_f16_e32 v214, v189, v76
	v_add_f16_e32 v215, v195, v212
	v_add_f16_e32 v76, v76, v189
	v_sub_f16_e32 v189, v212, v195
	v_sub_f16_e32 v195, v91, v89
	;; [unrolled: 1-line block ×7, first 2 shown]
	v_add_f16_e32 v211, v162, v166
	v_add_f16_e32 v212, v86, v77
	v_sub_f16_e32 v216, v162, v166
	v_sub_f16_e32 v217, v86, v77
	;; [unrolled: 1-line block ×3, first 2 shown]
	v_add_f16_e32 v93, v95, v93
	v_add_f16_e32 v95, v191, v167
	v_sub_f16_e32 v77, v77, v90
	v_sub_f16_e32 v162, v163, v162
	;; [unrolled: 1-line block ×3, first 2 shown]
	v_add_f16_e32 v163, v211, v163
	v_add_f16_e32 v90, v212, v90
	;; [unrolled: 1-line block ×3, first 2 shown]
	v_add_f16_sdwa v191, v101, v95 dst_sel:DWORD dst_unused:UNUSED_PAD src0_sel:WORD_1 src1_sel:DWORD
	v_mul_f16_e32 v89, 0x3a52, v89
	v_mul_f16_e32 v100, 0x3a52, v100
	;; [unrolled: 1-line block ×8, first 2 shown]
	v_fmamk_f16 v93, v93, 0xbcab, v167
	v_fmamk_f16 v95, v95, 0xbcab, v191
	;; [unrolled: 1-line block ×4, first 2 shown]
	v_fma_f16 v101, v195, 0x39e0, -v101
	v_fma_f16 v211, v210, 0x39e0, -v211
	;; [unrolled: 1-line block ×4, first 2 shown]
	v_fmamk_f16 v195, v162, 0xb574, v212
	v_fmamk_f16 v210, v86, 0xb574, v216
	v_fma_f16 v77, v77, 0xbb00, -v216
	v_fma_f16 v162, v162, 0x3574, -v217
	;; [unrolled: 1-line block ×3, first 2 shown]
	ds_read2_b32 v[71:72], v102 offset0:112 offset1:168
	v_fma_f16 v166, v166, 0xbb00, -v212
	v_add_f16_e32 v91, v91, v93
	v_add_f16_e32 v169, v169, v95
	;; [unrolled: 1-line block ×5, first 2 shown]
	v_fmac_f16_e32 v195, 0xb70e, v163
	v_fmac_f16_e32 v86, 0xb70e, v90
	;; [unrolled: 1-line block ×4, first 2 shown]
	v_add_f16_e32 v211, v211, v95
	v_fmac_f16_e32 v166, 0xb70e, v163
	v_sub_f16_e32 v95, v169, v195
	v_add_f16_e32 v163, v86, v89
	v_sub_f16_e32 v212, v93, v162
	v_sub_f16_e32 v216, v101, v77
	v_add_f16_e32 v77, v77, v101
	v_sub_f16_e32 v86, v89, v86
	v_add_f16_e32 v89, v162, v93
	v_add_f16_e32 v93, v195, v169
	;; [unrolled: 1-line block ×4, first 2 shown]
	v_sub_f16_e32 v92, v92, v140
	v_add_f16_e32 v140, v168, v197
	v_add_f16_e32 v169, v136, v96
	v_fmac_f16_e32 v210, 0xb70e, v90
	v_sub_f16_e32 v162, v193, v199
	v_sub_f16_e32 v168, v168, v197
	;; [unrolled: 1-line block ×3, first 2 shown]
	v_add_f16_e32 v136, v194, v192
	v_add_f16_e32 v193, v94, v138
	v_sub_f16_e32 v192, v192, v194
	v_sub_f16_e32 v94, v138, v94
	v_add_f16_e32 v138, v140, v100
	v_add_f16_e32 v194, v169, v101
	;; [unrolled: 1-line block ×4, first 2 shown]
	v_sub_f16_e32 v166, v211, v166
	v_sub_f16_e32 v91, v91, v210
	;; [unrolled: 1-line block ×8, first 2 shown]
	v_add_f16_e32 v199, v192, v168
	v_add_f16_e32 v210, v94, v96
	v_sub_f16_e32 v211, v192, v168
	v_sub_f16_e32 v218, v94, v96
	;; [unrolled: 1-line block ×3, first 2 shown]
	v_add_f16_e32 v136, v136, v138
	v_add_f16_e32 v138, v193, v194
	v_sub_f16_e32 v96, v96, v92
	v_sub_f16_e32 v192, v162, v192
	;; [unrolled: 1-line block ×3, first 2 shown]
	v_add_f16_e32 v162, v199, v162
	v_add_f16_e32 v92, v210, v92
	s_waitcnt lgkmcnt(0)
	v_add_f16_e32 v193, v71, v136
	v_add_f16_sdwa v71, v71, v138 dst_sel:DWORD dst_unused:UNUSED_PAD src0_sel:WORD_1 src1_sel:DWORD
	v_mul_f16_e32 v100, 0x3a52, v100
	v_mul_f16_e32 v101, 0x3a52, v101
	v_mul_f16_e32 v194, 0x2b26, v140
	v_mul_f16_e32 v199, 0x2b26, v169
	v_mul_f16_e32 v210, 0x3846, v211
	v_mul_f16_e32 v211, 0x3846, v218
	v_mul_f16_e32 v218, 0xbb00, v168
	v_mul_f16_e32 v219, 0xbb00, v96
	v_fmamk_f16 v136, v136, 0xbcab, v193
	v_fmamk_f16 v138, v138, 0xbcab, v71
	;; [unrolled: 1-line block ×4, first 2 shown]
	v_fma_f16 v194, v195, 0x39e0, -v194
	v_fma_f16 v199, v197, 0x39e0, -v199
	;; [unrolled: 1-line block ×4, first 2 shown]
	v_fmamk_f16 v195, v192, 0xb574, v210
	v_fmamk_f16 v197, v94, 0xb574, v211
	v_fma_f16 v192, v192, 0x3574, -v218
	v_fma_f16 v94, v94, 0x3574, -v219
	;; [unrolled: 1-line block ×4, first 2 shown]
	v_add_f16_e32 v169, v169, v138
	v_add_f16_e32 v100, v100, v136
	v_add_f16_e32 v101, v101, v138
	v_fmac_f16_e32 v195, 0xb70e, v162
	v_fmac_f16_e32 v94, 0xb70e, v92
	;; [unrolled: 1-line block ×3, first 2 shown]
	v_add_f16_e32 v140, v140, v136
	v_add_f16_e32 v194, v194, v136
	;; [unrolled: 1-line block ×3, first 2 shown]
	v_fmac_f16_e32 v197, 0xb70e, v92
	v_fmac_f16_e32 v168, 0xb70e, v162
	;; [unrolled: 1-line block ×3, first 2 shown]
	v_sub_f16_e32 v136, v169, v195
	v_add_f16_e32 v138, v94, v100
	v_sub_f16_e32 v162, v101, v192
	v_sub_f16_e32 v94, v100, v94
	v_add_f16_e32 v192, v192, v101
	v_add_f16_e32 v169, v195, v169
	;; [unrolled: 1-line block ×4, first 2 shown]
	v_sub_f16_e32 v141, v142, v141
	v_add_f16_e32 v142, v200, v204
	v_add_f16_e32 v195, v137, v190
	v_add_f16_e32 v92, v197, v140
	v_sub_f16_e32 v210, v194, v96
	v_add_f16_e32 v211, v168, v199
	v_add_f16_e32 v96, v96, v194
	v_sub_f16_e32 v168, v199, v168
	v_sub_f16_e32 v140, v140, v197
	;; [unrolled: 1-line block ×5, first 2 shown]
	v_add_f16_e32 v190, v198, v202
	v_add_f16_e32 v197, v188, v139
	v_sub_f16_e32 v198, v202, v198
	v_sub_f16_e32 v139, v139, v188
	v_add_f16_e32 v188, v142, v100
	v_add_f16_e32 v199, v195, v101
	v_sub_f16_e32 v200, v142, v100
	v_sub_f16_e32 v201, v195, v101
	;; [unrolled: 1-line block ×6, first 2 shown]
	v_add_f16_e32 v202, v198, v196
	v_add_f16_e32 v204, v139, v137
	v_sub_f16_e32 v218, v198, v196
	v_sub_f16_e32 v219, v139, v137
	v_sub_f16_e32 v196, v196, v194
	v_add_f16_e32 v188, v190, v188
	v_add_f16_e32 v190, v197, v199
	v_sub_f16_e32 v137, v137, v141
	v_sub_f16_e32 v198, v194, v198
	;; [unrolled: 1-line block ×3, first 2 shown]
	v_add_f16_e32 v194, v202, v194
	v_add_f16_e32 v141, v204, v141
	;; [unrolled: 1-line block ×3, first 2 shown]
	v_add_f16_sdwa v72, v72, v190 dst_sel:DWORD dst_unused:UNUSED_PAD src0_sel:WORD_1 src1_sel:DWORD
	v_mul_f16_e32 v100, 0x3a52, v100
	v_mul_f16_e32 v101, 0x3a52, v101
	v_mul_f16_e32 v199, 0x2b26, v142
	v_mul_f16_e32 v202, 0x2b26, v195
	v_mul_f16_e32 v204, 0x3846, v218
	v_mul_f16_e32 v218, 0x3846, v219
	v_mul_f16_e32 v219, 0xbb00, v196
	v_mul_f16_e32 v220, 0xbb00, v137
	v_fmamk_f16 v188, v188, 0xbcab, v197
	v_fmamk_f16 v190, v190, 0xbcab, v72
	;; [unrolled: 1-line block ×4, first 2 shown]
	v_fma_f16 v199, v200, 0x39e0, -v199
	v_fma_f16 v202, v201, 0x39e0, -v202
	;; [unrolled: 1-line block ×4, first 2 shown]
	v_fmamk_f16 v200, v198, 0xb574, v204
	v_fmamk_f16 v201, v139, 0xb574, v218
	v_fma_f16 v198, v198, 0x3574, -v219
	v_fma_f16 v139, v139, 0x3574, -v220
	;; [unrolled: 1-line block ×4, first 2 shown]
	v_add_f16_e32 v195, v195, v190
	v_add_f16_e32 v100, v100, v188
	;; [unrolled: 1-line block ×3, first 2 shown]
	v_fmac_f16_e32 v200, 0xb70e, v194
	v_fmac_f16_e32 v139, 0xb70e, v141
	;; [unrolled: 1-line block ×3, first 2 shown]
	v_add_f16_e32 v142, v142, v188
	v_add_f16_e32 v199, v199, v188
	;; [unrolled: 1-line block ×3, first 2 shown]
	v_fmac_f16_e32 v201, 0xb70e, v141
	v_fmac_f16_e32 v196, 0xb70e, v194
	;; [unrolled: 1-line block ×3, first 2 shown]
	v_sub_f16_e32 v188, v195, v200
	v_add_f16_e32 v190, v139, v100
	v_sub_f16_e32 v194, v101, v198
	v_sub_f16_e32 v139, v100, v139
	v_add_f16_e32 v198, v198, v101
	v_add_f16_e32 v195, v200, v195
	;; [unrolled: 1-line block ×4, first 2 shown]
	v_sub_f16_e32 v0, v0, v60
	v_add_f16_e32 v60, v143, v87
	v_add_f16_e32 v200, v1, v59
	v_add_f16_e32 v141, v201, v142
	v_sub_f16_e32 v204, v199, v137
	v_add_f16_e32 v218, v196, v202
	v_add_f16_e32 v137, v137, v199
	v_sub_f16_e32 v196, v202, v196
	v_sub_f16_e32 v142, v142, v201
	;; [unrolled: 1-line block ×5, first 2 shown]
	v_add_f16_e32 v59, v206, v208
	v_add_f16_e32 v143, v2, v3
	v_sub_f16_e32 v201, v208, v206
	v_sub_f16_e32 v2, v3, v2
	v_add_f16_e32 v3, v60, v100
	v_add_f16_e32 v202, v200, v101
	v_sub_f16_e32 v203, v60, v100
	v_sub_f16_e32 v205, v200, v101
	;; [unrolled: 1-line block ×6, first 2 shown]
	v_add_f16_e32 v206, v201, v87
	v_add_f16_e32 v208, v2, v1
	v_sub_f16_e32 v219, v201, v87
	v_sub_f16_e32 v220, v2, v1
	;; [unrolled: 1-line block ×3, first 2 shown]
	v_add_f16_e32 v3, v59, v3
	v_add_f16_e32 v59, v143, v202
	v_sub_f16_e32 v1, v1, v0
	v_sub_f16_e32 v201, v199, v201
	;; [unrolled: 1-line block ×3, first 2 shown]
	v_add_f16_e32 v143, v206, v199
	v_add_f16_e32 v0, v208, v0
	v_add_f16_e32 v199, v69, v3
	v_add_f16_sdwa v69, v69, v59 dst_sel:DWORD dst_unused:UNUSED_PAD src0_sel:WORD_1 src1_sel:DWORD
	v_mul_f16_e32 v100, 0x3a52, v100
	v_mul_f16_e32 v101, 0x3a52, v101
	;; [unrolled: 1-line block ×8, first 2 shown]
	v_fmamk_f16 v3, v3, 0xbcab, v199
	v_fmamk_f16 v59, v59, 0xbcab, v69
	v_fmamk_f16 v60, v60, 0x2b26, v100
	v_fmamk_f16 v200, v200, 0x2b26, v101
	v_fma_f16 v202, v203, 0x39e0, -v202
	v_fma_f16 v206, v205, 0x39e0, -v206
	;; [unrolled: 1-line block ×4, first 2 shown]
	v_fmamk_f16 v203, v201, 0xb574, v208
	v_fmamk_f16 v205, v2, 0xb574, v219
	v_fma_f16 v201, v201, 0x3574, -v220
	v_fma_f16 v2, v2, 0x3574, -v221
	;; [unrolled: 1-line block ×3, first 2 shown]
	v_add_f16_e32 v60, v60, v3
	v_add_f16_e32 v200, v200, v59
	;; [unrolled: 1-line block ×6, first 2 shown]
	v_fmac_f16_e32 v205, 0xb70e, v0
	v_fmac_f16_e32 v2, 0xb70e, v0
	;; [unrolled: 1-line block ×3, first 2 shown]
	v_fma_f16 v87, v87, 0xbb00, -v208
	v_fmac_f16_e32 v1, 0xb70e, v0
	v_add_f16_e32 v0, v205, v60
	v_add_f16_e32 v208, v2, v3
	v_sub_f16_e32 v219, v59, v201
	v_sub_f16_e32 v2, v3, v2
	v_add_f16_e32 v3, v201, v59
	v_sub_f16_e32 v100, v60, v205
	v_pack_b32_f16 v59, v207, v209
	v_pack_b32_f16 v60, v70, v88
	;; [unrolled: 1-line block ×9, first 2 shown]
	s_barrier
	buffer_gl0_inv
	ds_write2_b32 v144, v59, v60 offset1:4
	ds_write2_b32 v144, v70, v88 offset0:8 offset1:12
	ds_write2_b32 v144, v76, v78 offset0:16 offset1:20
	ds_write_b32 v144, v79 offset:96
	ds_write2_b32 v146, v80, v85 offset1:4
	v_pack_b32_f16 v59, v163, v212
	v_pack_b32_f16 v60, v216, v217
	v_fmac_f16_e32 v203, 0xb70e, v143
	v_pack_b32_f16 v70, v77, v166
	v_pack_b32_f16 v76, v86, v89
	v_fmac_f16_e32 v87, 0xb70e, v143
	v_pack_b32_f16 v77, v91, v93
	v_pack_b32_f16 v71, v193, v71
	;; [unrolled: 1-line block ×5, first 2 shown]
	ds_write2_b32 v146, v59, v60 offset0:8 offset1:12
	ds_write2_b32 v146, v70, v76 offset0:16 offset1:20
	ds_write_b32 v146, v77 offset:96
	ds_write2_b32 v145, v71, v78 offset1:4
	ds_write2_b32 v145, v79, v80 offset0:8 offset1:12
	v_pack_b32_f16 v59, v96, v168
	v_pack_b32_f16 v60, v94, v192
	v_sub_f16_e32 v143, v200, v203
	v_pack_b32_f16 v70, v140, v169
	v_sub_f16_e32 v220, v202, v1
	v_add_f16_e32 v221, v87, v206
	v_pack_b32_f16 v71, v197, v72
	v_pack_b32_f16 v72, v141, v188
	v_add_f16_e32 v1, v1, v202
	v_sub_f16_e32 v87, v206, v87
	v_pack_b32_f16 v76, v190, v194
	v_pack_b32_f16 v77, v204, v218
	v_add_f16_e32 v101, v203, v200
	v_pack_b32_f16 v78, v137, v196
	v_pack_b32_f16 v79, v139, v198
	ds_write2_b32 v145, v59, v60 offset0:16 offset1:20
	ds_write_b32 v145, v70 offset:96
	ds_write2_b32 v147, v71, v72 offset1:4
	ds_write2_b32 v147, v76, v77 offset0:8 offset1:12
	ds_write2_b32 v147, v78, v79 offset0:16 offset1:20
	v_pack_b32_f16 v59, v142, v195
	v_pack_b32_f16 v60, v199, v69
	;; [unrolled: 1-line block ×8, first 2 shown]
	ds_write_b32 v147, v59 offset:96
	ds_write2_b32 v148, v60, v0 offset1:4
	ds_write2_b32 v148, v69, v70 offset0:8 offset1:12
	ds_write2_b32 v148, v1, v2 offset0:16 offset1:20
	ds_write_b32 v148, v3 offset:96
	v_add_nc_u32_e32 v2, 0x1600, v102
	s_waitcnt lgkmcnt(0)
	s_barrier
	buffer_gl0_inv
	ds_read2_b32 v[79:80], v102 offset1:56
	ds_read2_b32 v[0:1], v81 offset0:128 offset1:212
	ds_read2_b32 v[95:96], v74 offset0:12 offset1:68
	;; [unrolled: 1-line block ×16, first 2 shown]
	s_and_saveexec_b32 s1, s0
	s_cbranch_execz .LBB0_21
; %bb.20:
	ds_read_b32 v100, v102 offset:3808
	ds_read_b32 v97, v102 offset:7728
	s_waitcnt lgkmcnt(1)
	v_lshrrev_b32_e32 v101, 16, v100
	s_waitcnt lgkmcnt(0)
	v_lshrrev_b32_e32 v98, 16, v97
.LBB0_21:
	s_or_b32 exec_lo, exec_lo, s1
	s_waitcnt lgkmcnt(15)
	v_lshrrev_b32_e32 v99, 16, v1
	s_waitcnt lgkmcnt(14)
	v_lshrrev_b32_e32 v137, 16, v95
	v_lshrrev_b32_e32 v139, 16, v96
	s_waitcnt lgkmcnt(12)
	v_lshrrev_b32_e32 v141, 16, v91
	v_mul_f16_sdwa v199, v151, v1 dst_sel:DWORD dst_unused:UNUSED_PAD src0_sel:WORD_1 src1_sel:DWORD
	v_mul_f16_sdwa v198, v151, v99 dst_sel:DWORD dst_unused:UNUSED_PAD src0_sel:WORD_1 src1_sel:DWORD
	;; [unrolled: 1-line block ×3, first 2 shown]
	v_lshrrev_b32_e32 v143, 16, v92
	s_waitcnt lgkmcnt(10)
	v_lshrrev_b32_e32 v145, 16, v93
	v_lshrrev_b32_e32 v147, 16, v94
	v_fmac_f16_e32 v198, v151, v1
	v_fma_f16 v1, v151, v99, -v199
	v_mul_f16_sdwa v99, v179, v95 dst_sel:DWORD dst_unused:UNUSED_PAD src0_sel:WORD_1 src1_sel:DWORD
	v_fmac_f16_e32 v201, v179, v95
	v_mul_f16_sdwa v95, v178, v139 dst_sel:DWORD dst_unused:UNUSED_PAD src0_sel:WORD_1 src1_sel:DWORD
	v_mul_f16_sdwa v151, v178, v96 dst_sel:DWORD dst_unused:UNUSED_PAD src0_sel:WORD_1 src1_sel:DWORD
	;; [unrolled: 1-line block ×3, first 2 shown]
	v_fma_f16 v99, v179, v137, -v99
	v_mul_f16_sdwa v137, v177, v91 dst_sel:DWORD dst_unused:UNUSED_PAD src0_sel:WORD_1 src1_sel:DWORD
	v_fmac_f16_e32 v95, v178, v96
	v_fma_f16 v96, v178, v139, -v151
	v_fmac_f16_e32 v199, v177, v91
	v_mul_f16_sdwa v91, v171, v143 dst_sel:DWORD dst_unused:UNUSED_PAD src0_sel:WORD_1 src1_sel:DWORD
	v_mul_f16_sdwa v139, v171, v92 dst_sel:DWORD dst_unused:UNUSED_PAD src0_sel:WORD_1 src1_sel:DWORD
	s_waitcnt lgkmcnt(8)
	v_lshrrev_b32_e32 v161, 16, v89
	v_lshrrev_b32_e32 v163, 16, v90
	v_fma_f16 v137, v177, v141, -v137
	v_mul_f16_sdwa v141, v172, v145 dst_sel:DWORD dst_unused:UNUSED_PAD src0_sel:WORD_1 src1_sel:DWORD
	v_mul_f16_sdwa v151, v172, v93 dst_sel:DWORD dst_unused:UNUSED_PAD src0_sel:WORD_1 src1_sel:DWORD
	v_fmac_f16_e32 v91, v171, v92
	v_mul_f16_sdwa v92, v165, v147 dst_sel:DWORD dst_unused:UNUSED_PAD src0_sel:WORD_1 src1_sel:DWORD
	v_fma_f16 v139, v171, v143, -v139
	v_mul_f16_sdwa v143, v165, v94 dst_sel:DWORD dst_unused:UNUSED_PAD src0_sel:WORD_1 src1_sel:DWORD
	s_waitcnt lgkmcnt(6)
	v_lshrrev_b32_e32 v167, 16, v87
	v_lshrrev_b32_e32 v169, 16, v88
	v_fmac_f16_e32 v141, v172, v93
	v_fma_f16 v93, v172, v145, -v151
	v_fmac_f16_e32 v92, v165, v94
	v_mul_f16_sdwa v94, v164, v161 dst_sel:DWORD dst_unused:UNUSED_PAD src0_sel:WORD_1 src1_sel:DWORD
	v_mul_f16_sdwa v145, v164, v89 dst_sel:DWORD dst_unused:UNUSED_PAD src0_sel:WORD_1 src1_sel:DWORD
	;; [unrolled: 1-line block ×3, first 2 shown]
	v_fma_f16 v143, v165, v147, -v143
	v_mul_f16_sdwa v147, v158, v90 dst_sel:DWORD dst_unused:UNUSED_PAD src0_sel:WORD_1 src1_sel:DWORD
	s_waitcnt lgkmcnt(4)
	v_lshrrev_b32_e32 v189, 16, v85
	s_waitcnt lgkmcnt(2)
	v_lshrrev_b32_e32 v193, 16, v83
	v_fmac_f16_e32 v94, v164, v89
	v_fma_f16 v89, v164, v161, -v145
	v_fmac_f16_e32 v151, v158, v90
	v_mul_f16_sdwa v90, v159, v167 dst_sel:DWORD dst_unused:UNUSED_PAD src0_sel:WORD_1 src1_sel:DWORD
	v_fma_f16 v145, v158, v163, -v147
	v_mul_f16_sdwa v147, v159, v87 dst_sel:DWORD dst_unused:UNUSED_PAD src0_sel:WORD_1 src1_sel:DWORD
	v_mul_f16_sdwa v158, v160, v169 dst_sel:DWORD dst_unused:UNUSED_PAD src0_sel:WORD_1 src1_sel:DWORD
	v_mul_f16_sdwa v161, v160, v88 dst_sel:DWORD dst_unused:UNUSED_PAD src0_sel:WORD_1 src1_sel:DWORD
	v_lshrrev_b32_e32 v191, 16, v86
	v_lshrrev_b32_e32 v195, 16, v84
	v_fmac_f16_e32 v90, v159, v87
	v_mul_f16_sdwa v87, v157, v189 dst_sel:DWORD dst_unused:UNUSED_PAD src0_sel:WORD_1 src1_sel:DWORD
	v_fma_f16 v147, v159, v167, -v147
	v_fmac_f16_e32 v158, v160, v88
	v_fma_f16 v88, v160, v169, -v161
	v_mul_f16_sdwa v159, v157, v85 dst_sel:DWORD dst_unused:UNUSED_PAD src0_sel:WORD_1 src1_sel:DWORD
	v_mul_f16_sdwa v161, v155, v193 dst_sel:DWORD dst_unused:UNUSED_PAD src0_sel:WORD_1 src1_sel:DWORD
	s_waitcnt lgkmcnt(0)
	v_lshrrev_b32_e32 v197, 16, v81
	v_lshrrev_b32_e32 v202, 16, v82
	v_fmac_f16_e32 v87, v157, v85
	v_mul_f16_sdwa v85, v156, v191 dst_sel:DWORD dst_unused:UNUSED_PAD src0_sel:WORD_1 src1_sel:DWORD
	v_mul_f16_sdwa v160, v156, v86 dst_sel:DWORD dst_unused:UNUSED_PAD src0_sel:WORD_1 src1_sel:DWORD
	v_fma_f16 v157, v157, v189, -v159
	v_mul_f16_sdwa v159, v155, v83 dst_sel:DWORD dst_unused:UNUSED_PAD src0_sel:WORD_1 src1_sel:DWORD
	v_fmac_f16_e32 v161, v155, v83
	v_mul_f16_sdwa v83, v153, v195 dst_sel:DWORD dst_unused:UNUSED_PAD src0_sel:WORD_1 src1_sel:DWORD
	v_lshrrev_b32_e32 v57, 16, v79
	v_fmac_f16_e32 v85, v156, v86
	v_fma_f16 v86, v156, v191, -v160
	v_fma_f16 v155, v155, v193, -v159
	v_mul_f16_sdwa v156, v153, v84 dst_sel:DWORD dst_unused:UNUSED_PAD src0_sel:WORD_1 src1_sel:DWORD
	v_mul_f16_sdwa v159, v154, v197 dst_sel:DWORD dst_unused:UNUSED_PAD src0_sel:WORD_1 src1_sel:DWORD
	;; [unrolled: 1-line block ×3, first 2 shown]
	v_fmac_f16_e32 v83, v153, v84
	v_mul_f16_sdwa v84, v152, v202 dst_sel:DWORD dst_unused:UNUSED_PAD src0_sel:WORD_1 src1_sel:DWORD
	v_sub_f16_e32 v1, v57, v1
	v_fmac_f16_e32 v159, v154, v81
	v_fma_f16 v81, v154, v197, -v160
	v_mul_f16_sdwa v154, v152, v82 dst_sel:DWORD dst_unused:UNUSED_PAD src0_sel:WORD_1 src1_sel:DWORD
	v_fmac_f16_e32 v84, v152, v82
	v_sub_f16_e32 v82, v79, v198
	v_fma_f16 v57, v57, 2.0, -v1
	s_barrier
	buffer_gl0_inv
	v_fma_f16 v79, v79, 2.0, -v82
	v_pack_b32_f16 v1, v82, v1
	buffer_load_dword v82, off, s[20:23], 0 offset:20 ; 4-byte Folded Reload
	v_lshrrev_b32_e32 v136, 16, v80
	v_lshrrev_b32_e32 v138, 16, v77
	;; [unrolled: 1-line block ×3, first 2 shown]
	v_fma_f16 v153, v153, v195, -v156
	v_sub_f16_e32 v156, v80, v201
	v_sub_f16_e32 v99, v136, v99
	;; [unrolled: 1-line block ×4, first 2 shown]
	v_fma_f16 v152, v152, v202, -v154
	v_fma_f16 v80, v80, 2.0, -v156
	v_fma_f16 v136, v136, 2.0, -v99
	v_sub_f16_e32 v154, v78, v199
	v_sub_f16_e32 v137, v140, v137
	v_fma_f16 v77, v77, 2.0, -v95
	v_fma_f16 v138, v138, 2.0, -v96
	v_pack_b32_f16 v57, v79, v57
	v_fma_f16 v78, v78, 2.0, -v154
	v_fma_f16 v140, v140, 2.0, -v137
	v_pack_b32_f16 v79, v80, v136
	v_pack_b32_f16 v80, v156, v99
	v_lshrrev_b32_e32 v142, 16, v73
	v_sub_f16_e32 v91, v73, v91
	v_lshrrev_b32_e32 v144, 16, v74
	v_sub_f16_e32 v141, v74, v141
	;; [unrolled: 2-line block ×3, first 2 shown]
	v_fma_f16 v73, v73, 2.0, -v91
	v_sub_f16_e32 v93, v144, v93
	v_fma_f16 v74, v74, 2.0, -v141
	v_lshrrev_b32_e32 v148, 16, v76
	v_fma_f16 v142, v142, 2.0, -v139
	v_sub_f16_e32 v92, v75, v92
	v_fma_f16 v144, v144, 2.0, -v93
	v_sub_f16_e32 v143, v146, v143
	v_sub_f16_e32 v94, v76, v94
	v_pack_b32_f16 v73, v73, v142
	v_fma_f16 v75, v75, 2.0, -v92
	v_pack_b32_f16 v74, v74, v144
	v_fma_f16 v146, v146, 2.0, -v143
	v_sub_f16_e32 v89, v148, v89
	v_fma_f16 v76, v76, 2.0, -v94
	v_lshrrev_b32_e32 v162, 16, v71
	v_sub_f16_e32 v151, v71, v151
	v_pack_b32_f16 v75, v75, v146
	v_fma_f16 v148, v148, 2.0, -v89
	v_lshrrev_b32_e32 v166, 16, v72
	v_sub_f16_e32 v145, v162, v145
	v_fma_f16 v71, v71, 2.0, -v151
	v_lshrrev_b32_e32 v168, 16, v69
	v_lshrrev_b32_e32 v188, 16, v70
	;; [unrolled: 1-line block ×3, first 2 shown]
	v_fma_f16 v160, v162, 2.0, -v145
	v_sub_f16_e32 v90, v72, v90
	v_sub_f16_e32 v147, v166, v147
	v_lshrrev_b32_e32 v192, 16, v60
	v_sub_f16_e32 v158, v69, v158
	v_pack_b32_f16 v71, v71, v160
	v_sub_f16_e32 v88, v168, v88
	v_lshrrev_b32_e32 v194, 16, v2
	v_sub_f16_e32 v87, v70, v87
	v_sub_f16_e32 v157, v188, v157
	v_lshrrev_b32_e32 v196, 16, v3
	v_lshrrev_b32_e32 v200, 16, v0
	v_fma_f16 v72, v72, 2.0, -v90
	v_fma_f16 v162, v166, 2.0, -v147
	v_sub_f16_e32 v85, v59, v85
	v_sub_f16_e32 v86, v190, v86
	v_fma_f16 v69, v69, 2.0, -v158
	v_fma_f16 v163, v168, 2.0, -v88
	v_sub_f16_e32 v161, v60, v161
	v_sub_f16_e32 v155, v192, v155
	;; [unrolled: 4-line block ×3, first 2 shown]
	v_sub_f16_e32 v159, v3, v159
	v_sub_f16_e32 v81, v196, v81
	;; [unrolled: 1-line block ×4, first 2 shown]
	v_fma_f16 v59, v59, 2.0, -v85
	v_fma_f16 v165, v190, 2.0, -v86
	v_pack_b32_f16 v72, v72, v162
	v_fma_f16 v60, v60, 2.0, -v161
	v_fma_f16 v166, v192, 2.0, -v155
	v_pack_b32_f16 v69, v69, v163
	;; [unrolled: 3-line block ×3, first 2 shown]
	v_fma_f16 v3, v3, 2.0, -v159
	v_fma_f16 v168, v196, 2.0, -v81
	;; [unrolled: 1-line block ×4, first 2 shown]
	v_pack_b32_f16 v2, v2, v167
	s_waitcnt vmcnt(0)
	ds_write2_b32 v82, v57, v1 offset1:28
	ds_write2_b32 v176, v79, v80 offset1:28
	v_pack_b32_f16 v1, v77, v138
	v_pack_b32_f16 v57, v95, v96
	;; [unrolled: 1-line block ×4, first 2 shown]
	ds_write2_b32 v174, v1, v57 offset1:28
	ds_write2_b32 v175, v77, v78 offset1:28
	s_clause 0x1
	buffer_load_dword v1, off, s[20:23], 0 offset:32
	buffer_load_dword v77, off, s[20:23], 0 offset:24
	v_pack_b32_f16 v79, v91, v139
	v_pack_b32_f16 v80, v141, v93
	;; [unrolled: 1-line block ×6, first 2 shown]
	s_waitcnt vmcnt(1)
	ds_write2_b32 v1, v73, v79 offset1:28
	buffer_load_dword v1, off, s[20:23], 0 offset:36 ; 4-byte Folded Reload
	v_pack_b32_f16 v73, v151, v145
	s_waitcnt vmcnt(0)
	ds_write2_b32 v1, v74, v80 offset1:28
	buffer_load_dword v1, off, s[20:23], 0 offset:40 ; 4-byte Folded Reload
	v_pack_b32_f16 v74, v90, v147
	s_waitcnt vmcnt(0)
	ds_write2_b32 v1, v75, v82 offset1:28
	v_pack_b32_f16 v1, v76, v148
	v_pack_b32_f16 v75, v158, v88
	;; [unrolled: 1-line block ×3, first 2 shown]
	ds_write2_b32 v77, v1, v57 offset1:28
	buffer_load_dword v1, off, s[20:23], 0 offset:28 ; 4-byte Folded Reload
	v_pack_b32_f16 v57, v85, v86
	s_waitcnt vmcnt(0)
	ds_write2_b32 v1, v71, v73 offset1:28
	buffer_load_dword v1, off, s[20:23], 0 offset:44 ; 4-byte Folded Reload
	v_pack_b32_f16 v71, v84, v152
	s_waitcnt vmcnt(0)
	ds_write2_b32 v1, v72, v74 offset1:28
	ds_write2_b32 v170, v69, v75 offset1:28
	;; [unrolled: 1-line block ×3, first 2 shown]
	v_pack_b32_f16 v1, v59, v165
	v_pack_b32_f16 v59, v60, v166
	;; [unrolled: 1-line block ×5, first 2 shown]
	ds_write2_b32 v180, v1, v57 offset1:28
	ds_write2_b32 v181, v59, v60 offset1:28
	ds_write2_b32 v182, v2, v69 offset1:28
	ds_write2_b32 v183, v3, v70 offset1:28
	ds_write2_b32 v184, v0, v71 offset1:28
	s_and_saveexec_b32 s1, s0
	s_cbranch_execz .LBB0_23
; %bb.22:
	v_mul_f16_sdwa v0, v150, v98 dst_sel:DWORD dst_unused:UNUSED_PAD src0_sel:WORD_1 src1_sel:DWORD
	v_mul_f16_sdwa v1, v150, v97 dst_sel:DWORD dst_unused:UNUSED_PAD src0_sel:WORD_1 src1_sel:DWORD
	v_mov_b32_e32 v2, 2
	v_fmac_f16_e32 v0, v150, v97
	v_fma_f16 v1, v150, v98, -v1
	v_lshlrev_b32_sdwa v2, v2, v149 dst_sel:DWORD dst_unused:UNUSED_PAD src0_sel:DWORD src1_sel:WORD_0
	v_sub_f16_e32 v0, v100, v0
	v_sub_f16_e32 v1, v101, v1
	v_add_nc_u32_e32 v2, 0x1c00, v2
	v_fma_f16 v3, v100, 2.0, -v0
	v_fma_f16 v57, v101, 2.0, -v1
	v_pack_b32_f16 v0, v0, v1
	v_pack_b32_f16 v1, v3, v57
	ds_write2_b32 v2, v1, v0 offset0:112 offset1:140
.LBB0_23:
	s_or_b32 exec_lo, exec_lo, s1
	v_add_nc_u32_e32 v72, 0x200, v102
	v_add_nc_u32_e32 v73, 0x800, v102
	;; [unrolled: 1-line block ×3, first 2 shown]
	s_waitcnt lgkmcnt(0)
	s_barrier
	buffer_gl0_inv
	v_add_nc_u32_e32 v71, 0x1000, v102
	ds_read2_b32 v[0:1], v72 offset0:96 offset1:152
	ds_read2_b32 v[76:77], v73 offset0:48 offset1:104
	;; [unrolled: 1-line block ×3, first 2 shown]
	v_add_nc_u32_e32 v59, 0x1400, v102
	v_add_nc_u32_e32 v70, 0x1800, v102
	;; [unrolled: 1-line block ×3, first 2 shown]
	ds_read2_b32 v[80:81], v71 offset0:96 offset1:152
	ds_read2_b32 v[82:83], v59 offset0:64 offset1:120
	;; [unrolled: 1-line block ×6, first 2 shown]
	ds_read2_b32 v[92:93], v102 offset1:56
	v_add_nc_u32_e32 v75, 0x1200, v102
	v_add_nc_u32_e32 v57, 0x1c00, v102
	ds_read2_b32 v[94:95], v73 offset0:160 offset1:216
	ds_read2_b32 v[96:97], v75 offset0:80 offset1:136
	ds_read2_b32 v[98:99], v57 offset1:56
	ds_read2_b32 v[100:101], v69 offset0:192 offset1:248
	v_add_nc_u32_e32 v74, 0xe00, v102
	ds_read2_b32 v[138:139], v70 offset0:32 offset1:88
	ds_read_b32 v151, v102 offset:7616
	s_waitcnt lgkmcnt(15)
	v_lshrrev_b32_e32 v140, 16, v1
	s_waitcnt lgkmcnt(14)
	v_lshrrev_b32_e32 v141, 16, v76
	;; [unrolled: 2-line block ×3, first 2 shown]
	v_mul_f16_sdwa v172, v4, v1 dst_sel:DWORD dst_unused:UNUSED_PAD src0_sel:WORD_1 src1_sel:DWORD
	v_mul_f16_sdwa v174, v5, v76 dst_sel:DWORD dst_unused:UNUSED_PAD src0_sel:WORD_1 src1_sel:DWORD
	s_waitcnt lgkmcnt(11)
	v_lshrrev_b32_e32 v144, 16, v83
	v_lshrrev_b32_e32 v143, 16, v80
	v_mul_f16_sdwa v171, v4, v140 dst_sel:DWORD dst_unused:UNUSED_PAD src0_sel:WORD_1 src1_sel:DWORD
	v_mul_f16_sdwa v173, v5, v141 dst_sel:DWORD dst_unused:UNUSED_PAD src0_sel:WORD_1 src1_sel:DWORD
	;; [unrolled: 1-line block ×3, first 2 shown]
	s_waitcnt lgkmcnt(10)
	v_lshrrev_b32_e32 v145, 16, v84
	s_waitcnt lgkmcnt(9)
	v_lshrrev_b32_e32 v146, 16, v86
	v_lshrrev_b32_e32 v147, 16, v77
	v_fmac_f16_e32 v171, v4, v1
	v_fma_f16 v1, v4, v140, -v172
	v_fmac_f16_e32 v173, v5, v76
	v_fma_f16 v76, v5, v141, -v174
	v_fmac_f16_e32 v175, v6, v79
	v_mul_f16_sdwa v79, v6, v79 dst_sel:DWORD dst_unused:UNUSED_PAD src0_sel:WORD_1 src1_sel:DWORD
	v_mul_f16_sdwa v140, v7, v143 dst_sel:DWORD dst_unused:UNUSED_PAD src0_sel:WORD_1 src1_sel:DWORD
	;; [unrolled: 1-line block ×5, first 2 shown]
	s_waitcnt lgkmcnt(8)
	v_lshrrev_b32_e32 v148, 16, v88
	v_lshrrev_b32_e32 v149, 16, v81
	v_fma_f16 v79, v6, v142, -v79
	v_fmac_f16_e32 v140, v7, v80
	v_fma_f16 v80, v7, v143, -v141
	v_fmac_f16_e32 v172, v61, v83
	v_fma_f16 v83, v61, v144, -v174
	v_mul_f16_sdwa v141, v62, v145 dst_sel:DWORD dst_unused:UNUSED_PAD src0_sel:WORD_1 src1_sel:DWORD
	v_mul_f16_sdwa v142, v62, v84 dst_sel:DWORD dst_unused:UNUSED_PAD src0_sel:WORD_1 src1_sel:DWORD
	;; [unrolled: 1-line block ×5, first 2 shown]
	ds_read2_b32 v[136:137], v74 offset0:112 offset1:168
	s_waitcnt lgkmcnt(8)
	v_lshrrev_b32_e32 v150, 16, v90
	v_lshrrev_b32_e32 v152, 16, v85
	;; [unrolled: 1-line block ×3, first 2 shown]
	v_fmac_f16_e32 v141, v62, v84
	v_fma_f16 v84, v62, v145, -v142
	v_fmac_f16_e32 v143, v4, v86
	v_fma_f16 v4, v4, v146, -v144
	v_fmac_f16_e32 v174, v5, v77
	v_mul_f16_sdwa v77, v5, v77 dst_sel:DWORD dst_unused:UNUSED_PAD src0_sel:WORD_1 src1_sel:DWORD
	v_mul_f16_sdwa v86, v6, v148 dst_sel:DWORD dst_unused:UNUSED_PAD src0_sel:WORD_1 src1_sel:DWORD
	;; [unrolled: 1-line block ×5, first 2 shown]
	s_waitcnt lgkmcnt(6)
	v_lshrrev_b32_e32 v154, 16, v94
	v_lshrrev_b32_e32 v155, 16, v89
	v_fma_f16 v5, v5, v147, -v77
	v_fmac_f16_e32 v86, v6, v88
	v_fma_f16 v6, v6, v148, -v142
	v_fmac_f16_e32 v144, v7, v81
	v_fma_f16 v7, v7, v149, -v145
	v_mul_f16_sdwa v77, v61, v150 dst_sel:DWORD dst_unused:UNUSED_PAD src0_sel:WORD_1 src1_sel:DWORD
	v_mul_f16_sdwa v81, v61, v90 dst_sel:DWORD dst_unused:UNUSED_PAD src0_sel:WORD_1 src1_sel:DWORD
	;; [unrolled: 1-line block ×5, first 2 shown]
	s_waitcnt lgkmcnt(5)
	v_lshrrev_b32_e32 v156, 16, v96
	v_lshrrev_b32_e32 v157, 16, v91
	s_waitcnt lgkmcnt(4)
	v_lshrrev_b32_e32 v158, 16, v98
	v_fmac_f16_e32 v77, v61, v90
	v_fma_f16 v61, v61, v150, -v81
	v_fmac_f16_e32 v88, v62, v85
	v_fma_f16 v62, v62, v152, -v142
	v_fmac_f16_e32 v145, v16, v87
	v_mul_f16_sdwa v81, v16, v87 dst_sel:DWORD dst_unused:UNUSED_PAD src0_sel:WORD_1 src1_sel:DWORD
	v_mul_f16_sdwa v85, v17, v154 dst_sel:DWORD dst_unused:UNUSED_PAD src0_sel:WORD_1 src1_sel:DWORD
	;; [unrolled: 1-line block ×5, first 2 shown]
	s_waitcnt lgkmcnt(3)
	v_lshrrev_b32_e32 v159, 16, v100
	v_lshrrev_b32_e32 v160, 16, v95
	v_fma_f16 v16, v16, v153, -v81
	v_fmac_f16_e32 v85, v17, v94
	v_fma_f16 v17, v17, v154, -v87
	v_fmac_f16_e32 v90, v18, v89
	v_fma_f16 v18, v18, v155, -v142
	v_mul_f16_sdwa v81, v19, v156 dst_sel:DWORD dst_unused:UNUSED_PAD src0_sel:WORD_1 src1_sel:DWORD
	v_mul_f16_sdwa v87, v19, v96 dst_sel:DWORD dst_unused:UNUSED_PAD src0_sel:WORD_1 src1_sel:DWORD
	;; [unrolled: 1-line block ×5, first 2 shown]
	s_waitcnt lgkmcnt(0)
	v_lshrrev_b32_e32 v161, 16, v136
	v_lshrrev_b32_e32 v162, 16, v97
	;; [unrolled: 1-line block ×3, first 2 shown]
	v_fmac_f16_e32 v81, v19, v96
	v_fma_f16 v19, v19, v156, -v87
	v_fmac_f16_e32 v89, v67, v91
	v_fma_f16 v67, v67, v157, -v94
	v_fmac_f16_e32 v142, v68, v98
	v_mul_f16_sdwa v87, v68, v98 dst_sel:DWORD dst_unused:UNUSED_PAD src0_sel:WORD_1 src1_sel:DWORD
	v_mul_f16_sdwa v91, v12, v159 dst_sel:DWORD dst_unused:UNUSED_PAD src0_sel:WORD_1 src1_sel:DWORD
	;; [unrolled: 1-line block ×5, first 2 shown]
	v_lshrrev_b32_e32 v164, 16, v99
	v_lshrrev_b32_e32 v165, 16, v101
	v_fma_f16 v68, v68, v158, -v87
	v_fmac_f16_e32 v91, v12, v100
	v_fma_f16 v12, v12, v159, -v94
	v_fmac_f16_e32 v96, v13, v95
	v_fma_f16 v13, v13, v160, -v98
	v_mul_f16_sdwa v87, v14, v161 dst_sel:DWORD dst_unused:UNUSED_PAD src0_sel:WORD_1 src1_sel:DWORD
	v_mul_f16_sdwa v94, v14, v136 dst_sel:DWORD dst_unused:UNUSED_PAD src0_sel:WORD_1 src1_sel:DWORD
	v_mul_f16_sdwa v95, v15, v162 dst_sel:DWORD dst_unused:UNUSED_PAD src0_sel:WORD_1 src1_sel:DWORD
	v_mul_f16_sdwa v98, v15, v97 dst_sel:DWORD dst_unused:UNUSED_PAD src0_sel:WORD_1 src1_sel:DWORD
	v_mul_f16_sdwa v100, v65, v163 dst_sel:DWORD dst_unused:UNUSED_PAD src0_sel:WORD_1 src1_sel:DWORD
	v_lshrrev_b32_e32 v166, 16, v78
	v_lshrrev_b32_e32 v168, 16, v82
	v_fmac_f16_e32 v87, v14, v136
	v_fma_f16 v14, v14, v161, -v94
	v_fmac_f16_e32 v95, v15, v97
	v_fma_f16 v15, v15, v162, -v98
	v_fmac_f16_e32 v100, v65, v138
	v_mul_f16_sdwa v94, v65, v138 dst_sel:DWORD dst_unused:UNUSED_PAD src0_sel:WORD_1 src1_sel:DWORD
	v_mul_f16_sdwa v97, v66, v164 dst_sel:DWORD dst_unused:UNUSED_PAD src0_sel:WORD_1 src1_sel:DWORD
	;; [unrolled: 1-line block ×5, first 2 shown]
	v_lshrrev_b32_e32 v167, 16, v137
	v_lshrrev_b32_e32 v169, 16, v139
	v_fma_f16 v65, v65, v163, -v94
	v_fmac_f16_e32 v97, v66, v99
	v_fma_f16 v66, v66, v164, -v98
	v_fmac_f16_e32 v136, v8, v101
	v_fma_f16 v8, v8, v165, -v138
	v_mul_f16_sdwa v94, v9, v166 dst_sel:DWORD dst_unused:UNUSED_PAD src0_sel:WORD_1 src1_sel:DWORD
	v_mul_f16_sdwa v98, v9, v78 dst_sel:DWORD dst_unused:UNUSED_PAD src0_sel:WORD_1 src1_sel:DWORD
	v_mul_f16_sdwa v138, v11, v168 dst_sel:DWORD dst_unused:UNUSED_PAD src0_sel:WORD_1 src1_sel:DWORD
	v_lshrrev_b32_e32 v170, 16, v151
	v_mul_f16_sdwa v99, v10, v167 dst_sel:DWORD dst_unused:UNUSED_PAD src0_sel:WORD_1 src1_sel:DWORD
	v_mul_f16_sdwa v101, v10, v137 dst_sel:DWORD dst_unused:UNUSED_PAD src0_sel:WORD_1 src1_sel:DWORD
	v_fmac_f16_e32 v94, v9, v78
	v_fma_f16 v9, v9, v166, -v98
	v_fmac_f16_e32 v138, v11, v82
	v_mul_f16_sdwa v78, v11, v82 dst_sel:DWORD dst_unused:UNUSED_PAD src0_sel:WORD_1 src1_sel:DWORD
	v_mul_f16_sdwa v82, v63, v169 dst_sel:DWORD dst_unused:UNUSED_PAD src0_sel:WORD_1 src1_sel:DWORD
	;; [unrolled: 1-line block ×3, first 2 shown]
	v_fmac_f16_e32 v99, v10, v137
	v_fma_f16 v10, v10, v167, -v101
	v_mul_f16_sdwa v101, v64, v170 dst_sel:DWORD dst_unused:UNUSED_PAD src0_sel:WORD_1 src1_sel:DWORD
	v_mul_f16_sdwa v137, v64, v151 dst_sel:DWORD dst_unused:UNUSED_PAD src0_sel:WORD_1 src1_sel:DWORD
	v_fma_f16 v11, v11, v168, -v78
	v_fmac_f16_e32 v82, v63, v139
	v_fma_f16 v63, v63, v169, -v98
	v_add_f16_e32 v78, v171, v141
	v_add_f16_e32 v98, v1, v84
	v_sub_f16_e32 v1, v1, v84
	v_add_f16_e32 v84, v173, v172
	v_add_f16_e32 v139, v76, v83
	v_fmac_f16_e32 v101, v64, v151
	v_fma_f16 v64, v64, v170, -v137
	v_sub_f16_e32 v137, v171, v141
	v_sub_f16_e32 v141, v173, v172
	v_sub_f16_e32 v76, v76, v83
	v_add_f16_e32 v83, v175, v140
	v_add_f16_e32 v146, v79, v80
	v_sub_f16_e32 v140, v140, v175
	v_sub_f16_e32 v79, v80, v79
	v_add_f16_e32 v80, v84, v78
	v_add_f16_e32 v147, v139, v98
	v_sub_f16_e32 v148, v84, v78
	v_sub_f16_e32 v149, v139, v98
	;; [unrolled: 1-line block ×6, first 2 shown]
	v_add_f16_e32 v150, v140, v141
	v_add_f16_e32 v151, v79, v76
	v_sub_f16_e32 v152, v140, v141
	v_sub_f16_e32 v153, v79, v76
	;; [unrolled: 1-line block ×3, first 2 shown]
	v_add_f16_e32 v80, v83, v80
	v_add_f16_e32 v83, v146, v147
	v_sub_f16_e32 v76, v76, v1
	v_sub_f16_e32 v140, v137, v140
	;; [unrolled: 1-line block ×3, first 2 shown]
	v_add_f16_e32 v137, v150, v137
	v_add_f16_e32 v1, v151, v1
	;; [unrolled: 1-line block ×3, first 2 shown]
	v_add_f16_sdwa v92, v92, v83 dst_sel:DWORD dst_unused:UNUSED_PAD src0_sel:WORD_1 src1_sel:DWORD
	v_mul_f16_e32 v78, 0x3a52, v78
	v_mul_f16_e32 v98, 0x3a52, v98
	;; [unrolled: 1-line block ×8, first 2 shown]
	v_fmamk_f16 v80, v80, 0xbcab, v146
	v_fmamk_f16 v83, v83, 0xbcab, v92
	;; [unrolled: 1-line block ×4, first 2 shown]
	v_fma_f16 v147, v148, 0x39e0, -v147
	v_fma_f16 v150, v149, 0x39e0, -v150
	;; [unrolled: 1-line block ×4, first 2 shown]
	v_fmamk_f16 v148, v140, 0xb574, v151
	v_fmamk_f16 v149, v79, 0xb574, v152
	v_fma_f16 v140, v140, 0x3574, -v153
	v_fma_f16 v79, v79, 0x3574, -v154
	v_fma_f16 v141, v141, 0xbb00, -v151
	v_fma_f16 v76, v76, 0xbb00, -v152
	v_add_f16_e32 v84, v84, v80
	v_add_f16_e32 v139, v139, v83
	;; [unrolled: 1-line block ×5, first 2 shown]
	v_fmac_f16_e32 v148, 0xb70e, v137
	v_fmac_f16_e32 v149, 0xb70e, v1
	;; [unrolled: 1-line block ×4, first 2 shown]
	v_add_f16_e32 v150, v150, v83
	v_fmac_f16_e32 v141, 0xb70e, v137
	v_fmac_f16_e32 v76, 0xb70e, v1
	v_add_f16_e32 v1, v149, v84
	v_sub_f16_e32 v83, v139, v148
	v_add_f16_e32 v98, v79, v78
	v_sub_f16_e32 v137, v80, v140
	v_sub_f16_e32 v78, v78, v79
	v_add_f16_e32 v79, v140, v80
	v_sub_f16_e32 v80, v84, v149
	v_add_f16_e32 v84, v148, v139
	v_add_f16_e32 v139, v143, v88
	;; [unrolled: 1-line block ×3, first 2 shown]
	v_sub_f16_e32 v88, v143, v88
	v_sub_f16_e32 v4, v4, v62
	v_add_f16_e32 v62, v174, v77
	v_add_f16_e32 v143, v5, v61
	v_sub_f16_e32 v151, v147, v76
	v_add_f16_e32 v76, v76, v147
	v_sub_f16_e32 v77, v174, v77
	v_sub_f16_e32 v5, v5, v61
	v_add_f16_e32 v61, v86, v144
	v_add_f16_e32 v147, v6, v7
	v_sub_f16_e32 v86, v144, v86
	v_sub_f16_e32 v6, v7, v6
	v_add_f16_e32 v7, v62, v139
	v_add_f16_e32 v144, v143, v140
	;; [unrolled: 1-line block ×3, first 2 shown]
	v_sub_f16_e32 v141, v150, v141
	v_sub_f16_e32 v148, v62, v139
	;; [unrolled: 1-line block ×7, first 2 shown]
	v_add_f16_e32 v150, v86, v77
	v_add_f16_e32 v153, v6, v5
	v_sub_f16_e32 v154, v86, v77
	v_sub_f16_e32 v155, v6, v5
	;; [unrolled: 1-line block ×3, first 2 shown]
	v_add_f16_e32 v7, v61, v7
	v_add_f16_e32 v61, v147, v144
	v_sub_f16_e32 v5, v5, v4
	v_sub_f16_e32 v86, v88, v86
	;; [unrolled: 1-line block ×3, first 2 shown]
	v_add_f16_e32 v88, v150, v88
	v_add_f16_e32 v4, v153, v4
	v_add_f16_e32 v144, v93, v7
	v_add_f16_sdwa v93, v93, v61 dst_sel:DWORD dst_unused:UNUSED_PAD src0_sel:WORD_1 src1_sel:DWORD
	v_mul_f16_e32 v139, 0x3a52, v139
	v_mul_f16_e32 v140, 0x3a52, v140
	;; [unrolled: 1-line block ×8, first 2 shown]
	v_fmamk_f16 v7, v7, 0xbcab, v144
	v_fmamk_f16 v61, v61, 0xbcab, v93
	;; [unrolled: 1-line block ×4, first 2 shown]
	v_fma_f16 v147, v148, 0x39e0, -v147
	v_fma_f16 v150, v149, 0x39e0, -v150
	;; [unrolled: 1-line block ×4, first 2 shown]
	v_fmamk_f16 v148, v86, 0xb574, v153
	v_fmamk_f16 v149, v6, 0xb574, v154
	v_fma_f16 v86, v86, 0x3574, -v155
	v_fma_f16 v6, v6, 0x3574, -v156
	ds_read2_b32 v[2:3], v102 offset0:112 offset1:168
	v_fma_f16 v77, v77, 0xbb00, -v153
	v_fma_f16 v5, v5, 0xbb00, -v154
	v_add_f16_e32 v62, v62, v7
	v_add_f16_e32 v143, v143, v61
	;; [unrolled: 1-line block ×6, first 2 shown]
	v_fmac_f16_e32 v148, 0xb70e, v88
	v_fmac_f16_e32 v149, 0xb70e, v4
	;; [unrolled: 1-line block ×6, first 2 shown]
	v_add_f16_e32 v4, v149, v62
	v_sub_f16_e32 v88, v143, v148
	v_add_f16_e32 v139, v6, v7
	v_sub_f16_e32 v140, v61, v86
	v_sub_f16_e32 v6, v7, v6
	v_add_f16_e32 v7, v86, v61
	v_sub_f16_e32 v61, v62, v149
	v_add_f16_e32 v62, v148, v143
	v_add_f16_e32 v86, v145, v142
	;; [unrolled: 1-line block ×3, first 2 shown]
	v_sub_f16_e32 v142, v145, v142
	v_sub_f16_e32 v16, v16, v68
	v_add_f16_e32 v68, v85, v89
	v_add_f16_e32 v145, v17, v67
	v_sub_f16_e32 v85, v85, v89
	v_sub_f16_e32 v17, v17, v67
	v_add_f16_e32 v67, v90, v81
	v_add_f16_e32 v89, v18, v19
	;; [unrolled: 4-line block ×3, first 2 shown]
	v_sub_f16_e32 v153, v147, v5
	v_add_f16_e32 v154, v77, v150
	v_add_f16_e32 v5, v5, v147
	v_sub_f16_e32 v77, v150, v77
	v_sub_f16_e32 v147, v68, v86
	;; [unrolled: 1-line block ×7, first 2 shown]
	v_add_f16_e32 v149, v81, v85
	v_add_f16_e32 v150, v18, v17
	v_sub_f16_e32 v155, v81, v85
	v_sub_f16_e32 v156, v18, v17
	v_sub_f16_e32 v85, v85, v142
	v_add_f16_e32 v19, v67, v19
	v_add_f16_e32 v67, v89, v90
	v_sub_f16_e32 v17, v17, v16
	v_sub_f16_e32 v81, v142, v81
	v_sub_f16_e32 v18, v16, v18
	v_add_f16_e32 v89, v149, v142
	v_add_f16_e32 v16, v150, v16
	s_waitcnt lgkmcnt(0)
	v_add_f16_e32 v90, v2, v19
	v_add_f16_sdwa v2, v2, v67 dst_sel:DWORD dst_unused:UNUSED_PAD src0_sel:WORD_1 src1_sel:DWORD
	v_mul_f16_e32 v86, 0x3a52, v86
	v_mul_f16_e32 v142, 0x3a52, v143
	;; [unrolled: 1-line block ×8, first 2 shown]
	v_fmamk_f16 v19, v19, 0xbcab, v90
	v_fmamk_f16 v67, v67, 0xbcab, v2
	;; [unrolled: 1-line block ×4, first 2 shown]
	v_fma_f16 v143, v147, 0x39e0, -v143
	v_fma_f16 v149, v148, 0x39e0, -v149
	;; [unrolled: 1-line block ×4, first 2 shown]
	v_fmamk_f16 v147, v81, 0xb574, v150
	v_fmamk_f16 v148, v18, 0xb574, v155
	v_fma_f16 v17, v17, 0xbb00, -v155
	v_fma_f16 v81, v81, 0x3574, -v156
	;; [unrolled: 1-line block ×4, first 2 shown]
	v_add_f16_e32 v68, v68, v19
	v_add_f16_e32 v145, v145, v67
	;; [unrolled: 1-line block ×6, first 2 shown]
	v_fmac_f16_e32 v18, 0xb70e, v16
	v_fmac_f16_e32 v81, 0xb70e, v89
	;; [unrolled: 1-line block ×5, first 2 shown]
	v_add_f16_e32 v89, v18, v19
	v_sub_f16_e32 v142, v67, v81
	v_sub_f16_e32 v150, v143, v17
	v_add_f16_e32 v17, v17, v143
	v_sub_f16_e32 v18, v19, v18
	v_add_f16_e32 v19, v81, v67
	v_add_f16_e32 v81, v91, v97
	v_add_f16_e32 v143, v12, v66
	v_sub_f16_e32 v91, v91, v97
	v_sub_f16_e32 v12, v12, v66
	v_add_f16_e32 v66, v96, v100
	v_add_f16_e32 v97, v13, v65
	v_fmac_f16_e32 v148, 0xb70e, v16
	v_sub_f16_e32 v96, v96, v100
	v_sub_f16_e32 v13, v13, v65
	v_add_f16_e32 v65, v87, v95
	v_add_f16_e32 v100, v14, v15
	v_sub_f16_e32 v87, v95, v87
	v_sub_f16_e32 v14, v15, v14
	v_add_f16_e32 v15, v66, v81
	v_add_f16_e32 v95, v97, v143
	;; [unrolled: 1-line block ×3, first 2 shown]
	v_sub_f16_e32 v86, v145, v147
	v_add_f16_e32 v155, v85, v149
	v_sub_f16_e32 v85, v149, v85
	v_sub_f16_e32 v67, v68, v148
	v_add_f16_e32 v68, v147, v145
	v_sub_f16_e32 v145, v66, v81
	v_sub_f16_e32 v147, v97, v143
	;; [unrolled: 1-line block ×6, first 2 shown]
	v_add_f16_e32 v148, v87, v96
	v_add_f16_e32 v149, v14, v13
	v_sub_f16_e32 v156, v87, v96
	v_sub_f16_e32 v157, v14, v13
	;; [unrolled: 1-line block ×3, first 2 shown]
	v_add_f16_e32 v15, v65, v15
	v_add_f16_e32 v65, v100, v95
	v_sub_f16_e32 v13, v13, v12
	v_sub_f16_e32 v87, v91, v87
	;; [unrolled: 1-line block ×3, first 2 shown]
	v_add_f16_e32 v91, v148, v91
	v_add_f16_e32 v12, v149, v12
	;; [unrolled: 1-line block ×3, first 2 shown]
	v_add_f16_sdwa v3, v3, v65 dst_sel:DWORD dst_unused:UNUSED_PAD src0_sel:WORD_1 src1_sel:DWORD
	v_mul_f16_e32 v81, 0x3a52, v81
	v_mul_f16_e32 v100, 0x3a52, v143
	;; [unrolled: 1-line block ×8, first 2 shown]
	v_fmamk_f16 v15, v15, 0xbcab, v95
	v_fmamk_f16 v65, v65, 0xbcab, v3
	;; [unrolled: 1-line block ×4, first 2 shown]
	v_fma_f16 v143, v145, 0x39e0, -v143
	v_fma_f16 v148, v147, 0x39e0, -v148
	;; [unrolled: 1-line block ×4, first 2 shown]
	v_fmamk_f16 v145, v87, 0xb574, v149
	v_fmamk_f16 v147, v14, 0xb574, v156
	v_fma_f16 v87, v87, 0x3574, -v157
	v_fma_f16 v14, v14, 0x3574, -v158
	;; [unrolled: 1-line block ×4, first 2 shown]
	v_add_f16_e32 v66, v66, v15
	v_add_f16_e32 v97, v97, v65
	;; [unrolled: 1-line block ×6, first 2 shown]
	v_fmac_f16_e32 v145, 0xb70e, v91
	v_fmac_f16_e32 v147, 0xb70e, v12
	;; [unrolled: 1-line block ×6, first 2 shown]
	v_add_f16_e32 v12, v147, v66
	v_sub_f16_e32 v81, v97, v145
	v_add_f16_e32 v91, v14, v15
	v_sub_f16_e32 v100, v65, v87
	v_sub_f16_e32 v14, v15, v14
	v_add_f16_e32 v15, v87, v65
	v_sub_f16_e32 v65, v66, v147
	v_add_f16_e32 v66, v145, v97
	v_add_f16_e32 v87, v136, v101
	;; [unrolled: 1-line block ×3, first 2 shown]
	v_sub_f16_e32 v101, v136, v101
	v_sub_f16_e32 v8, v8, v64
	v_add_f16_e32 v64, v94, v82
	v_add_f16_e32 v136, v9, v63
	v_sub_f16_e32 v82, v94, v82
	v_sub_f16_e32 v9, v9, v63
	v_add_f16_e32 v63, v99, v138
	v_add_f16_e32 v94, v10, v11
	;; [unrolled: 4-line block ×3, first 2 shown]
	v_sub_f16_e32 v149, v143, v13
	v_add_f16_e32 v156, v96, v148
	v_add_f16_e32 v13, v13, v143
	v_sub_f16_e32 v96, v148, v96
	v_sub_f16_e32 v143, v64, v87
	;; [unrolled: 1-line block ×7, first 2 shown]
	v_add_f16_e32 v147, v99, v82
	v_add_f16_e32 v148, v10, v9
	v_sub_f16_e32 v157, v99, v82
	v_sub_f16_e32 v158, v10, v9
	v_add_f16_e32 v11, v63, v11
	v_add_f16_e32 v63, v94, v138
	v_sub_f16_e32 v82, v82, v101
	v_sub_f16_e32 v9, v9, v8
	;; [unrolled: 1-line block ×4, first 2 shown]
	v_add_f16_e32 v94, v147, v101
	v_add_f16_e32 v8, v148, v8
	;; [unrolled: 1-line block ×3, first 2 shown]
	v_add_f16_sdwa v0, v0, v63 dst_sel:DWORD dst_unused:UNUSED_PAD src0_sel:WORD_1 src1_sel:DWORD
	v_mul_f16_e32 v87, 0x3a52, v87
	v_mul_f16_e32 v97, 0x3a52, v97
	;; [unrolled: 1-line block ×8, first 2 shown]
	v_pack_b32_f16 v92, v146, v92
	v_pack_b32_f16 v1, v1, v83
	v_fmamk_f16 v11, v11, 0xbcab, v101
	v_fmamk_f16 v63, v63, 0xbcab, v0
	;; [unrolled: 1-line block ×4, first 2 shown]
	v_fma_f16 v138, v143, 0x39e0, -v138
	v_fma_f16 v147, v145, 0x39e0, -v147
	;; [unrolled: 1-line block ×4, first 2 shown]
	v_fmamk_f16 v143, v99, 0xb574, v148
	v_fmamk_f16 v145, v10, 0xb574, v157
	v_pack_b32_f16 v83, v98, v137
	v_pack_b32_f16 v98, v151, v152
	v_fma_f16 v82, v82, 0xbb00, -v148
	v_fma_f16 v9, v9, 0xbb00, -v157
	v_fma_f16 v99, v99, 0x3574, -v158
	v_fma_f16 v10, v10, 0x3574, -v159
	v_pack_b32_f16 v76, v76, v141
	v_pack_b32_f16 v78, v78, v79
	;; [unrolled: 1-line block ×4, first 2 shown]
	s_barrier
	buffer_gl0_inv
	ds_write2_b32 v102, v92, v1 offset1:56
	ds_write2_b32 v102, v83, v98 offset0:112 offset1:168
	ds_write2_b32 v72, v76, v78 offset0:96 offset1:152
	;; [unrolled: 1-line block ×3, first 2 shown]
	v_pack_b32_f16 v1, v4, v88
	v_pack_b32_f16 v4, v139, v140
	v_add_f16_e32 v64, v64, v11
	v_add_f16_e32 v136, v136, v63
	v_fmac_f16_e32 v143, 0xb70e, v94
	v_fmac_f16_e32 v145, 0xb70e, v8
	v_pack_b32_f16 v76, v153, v154
	v_pack_b32_f16 v5, v5, v77
	v_add_f16_e32 v138, v138, v11
	v_add_f16_e32 v147, v147, v63
	;; [unrolled: 1-line block ×4, first 2 shown]
	v_fmac_f16_e32 v82, 0xb70e, v94
	v_fmac_f16_e32 v10, 0xb70e, v8
	;; [unrolled: 1-line block ×4, first 2 shown]
	v_pack_b32_f16 v6, v6, v7
	v_pack_b32_f16 v7, v61, v62
	;; [unrolled: 1-line block ×4, first 2 shown]
	v_add_nc_u32_e32 v61, 0xc00, v185
	v_pack_b32_f16 v62, v89, v142
	v_pack_b32_f16 v77, v150, v155
	ds_write2_b32 v69, v1, v4 offset0:192 offset1:248
	ds_write2_b32 v73, v76, v5 offset0:48 offset1:104
	;; [unrolled: 1-line block ×5, first 2 shown]
	v_pack_b32_f16 v1, v17, v85
	v_pack_b32_f16 v2, v18, v19
	v_add_nc_u32_e32 v4, 0xe00, v185
	v_add_f16_e32 v8, v145, v64
	v_sub_f16_e32 v87, v136, v143
	v_pack_b32_f16 v5, v67, v68
	v_add_f16_e32 v94, v10, v11
	v_sub_f16_e32 v97, v63, v99
	v_sub_f16_e32 v148, v138, v9
	v_add_f16_e32 v157, v82, v147
	v_pack_b32_f16 v3, v95, v3
	v_pack_b32_f16 v6, v12, v81
	v_add_nc_u32_e32 v7, 0x1000, v186
	v_add_f16_e32 v9, v9, v138
	v_sub_f16_e32 v82, v147, v82
	v_sub_f16_e32 v10, v11, v10
	v_add_f16_e32 v11, v99, v63
	v_pack_b32_f16 v12, v91, v100
	v_pack_b32_f16 v16, v149, v156
	v_add_nc_u32_e32 v17, 0x1400, v186
	v_sub_f16_e32 v63, v64, v145
	v_add_f16_e32 v64, v143, v136
	v_pack_b32_f16 v13, v13, v96
	v_pack_b32_f16 v14, v14, v15
	ds_write2_b32 v4, v1, v2 offset0:112 offset1:168
	ds_write_b32 v185, v5 offset:4480
	ds_write2_b32 v7, v3, v6 offset0:152 offset1:208
	ds_write2_b32 v17, v12, v16 offset0:8 offset1:64
	;; [unrolled: 1-line block ×3, first 2 shown]
	v_pack_b32_f16 v1, v65, v66
	v_pack_b32_f16 v0, v101, v0
	;; [unrolled: 1-line block ×3, first 2 shown]
	v_add_nc_u32_e32 v3, 0x1800, v187
	v_pack_b32_f16 v4, v94, v97
	v_pack_b32_f16 v5, v148, v157
	;; [unrolled: 1-line block ×4, first 2 shown]
	v_add_nc_u32_e32 v8, 0x1c00, v187
	v_pack_b32_f16 v9, v63, v64
	ds_write_b32 v186, v1 offset:6048
	ds_write2_b32 v3, v0, v2 offset0:32 offset1:88
	ds_write2_b32 v3, v4, v5 offset0:144 offset1:200
	ds_write2_b32 v8, v6, v7 offset1:56
	ds_write_b32 v187, v9 offset:7616
	s_waitcnt lgkmcnt(0)
	s_barrier
	buffer_gl0_inv
	ds_read2_b32 v[2:3], v102 offset1:56
	ds_read2_b32 v[0:1], v69 offset0:80 offset1:136
	ds_read2_b32 v[15:16], v60 offset0:16 offset1:72
	;; [unrolled: 1-line block ×12, first 2 shown]
	ds_read2_b32 v[86:87], v57 offset1:56
	ds_read2_b32 v[88:89], v73 offset0:160 offset1:216
	ds_read2_b32 v[90:91], v59 offset0:176 offset1:232
	ds_read_b32 v101, v102 offset:7616
	ds_read2_b32 v[6:7], v72 offset0:96 offset1:152
	s_mov_b32 s4, 0xec259dc8
	s_mov_b32 s5, 0x3f40b7e6
	s_waitcnt lgkmcnt(17)
	v_lshrrev_b32_e32 v9, 16, v2
	s_waitcnt lgkmcnt(16)
	v_lshrrev_b32_e32 v17, 16, v1
	;; [unrolled: 2-line block ×3, first 2 shown]
	v_mul_f16_sdwa v149, v40, v1 dst_sel:DWORD dst_unused:UNUSED_PAD src0_sel:WORD_1 src1_sel:DWORD
	s_waitcnt lgkmcnt(13)
	v_lshrrev_b32_e32 v81, 16, v61
	s_waitcnt lgkmcnt(12)
	v_lshrrev_b32_e32 v92, 16, v63
	v_mul_f16_sdwa v148, v40, v17 dst_sel:DWORD dst_unused:UNUSED_PAD src0_sel:WORD_1 src1_sel:DWORD
	s_waitcnt lgkmcnt(11)
	v_lshrrev_b32_e32 v94, 16, v65
	v_lshrrev_b32_e32 v96, 16, v64
	v_mul_f16_sdwa v154, v43, v81 dst_sel:DWORD dst_unused:UNUSED_PAD src0_sel:WORD_1 src1_sel:DWORD
	v_lshrrev_b32_e32 v95, 16, v62
	v_fmac_f16_e32 v148, v40, v1
	v_fma_f16 v40, v40, v17, -v149
	v_mul_f16_sdwa v149, v41, v77 dst_sel:DWORD dst_unused:UNUSED_PAD src0_sel:WORD_1 src1_sel:DWORD
	v_mul_f16_sdwa v1, v41, v15 dst_sel:DWORD dst_unused:UNUSED_PAD src0_sel:WORD_1 src1_sel:DWORD
	v_fmac_f16_e32 v154, v43, v61
	v_mul_f16_sdwa v155, v46, v94 dst_sel:DWORD dst_unused:UNUSED_PAD src0_sel:WORD_1 src1_sel:DWORD
	s_waitcnt lgkmcnt(9)
	v_lshrrev_b32_e32 v99, 16, v75
	v_fmac_f16_e32 v149, v41, v15
	v_fma_f16 v41, v41, v77, -v1
	v_mul_f16_sdwa v1, v43, v61 dst_sel:DWORD dst_unused:UNUSED_PAD src0_sel:WORD_1 src1_sel:DWORD
	v_mul_f16_sdwa v15, v44, v63 dst_sel:DWORD dst_unused:UNUSED_PAD src0_sel:WORD_1 src1_sel:DWORD
	v_fmac_f16_e32 v155, v46, v65
	v_mul_f16_sdwa v61, v44, v92 dst_sel:DWORD dst_unused:UNUSED_PAD src0_sel:WORD_1 src1_sel:DWORD
	v_mul_f16_sdwa v157, v32, v96 dst_sel:DWORD dst_unused:UNUSED_PAD src0_sel:WORD_1 src1_sel:DWORD
	v_fma_f16 v43, v43, v81, -v1
	v_mul_f16_sdwa v1, v46, v65 dst_sel:DWORD dst_unused:UNUSED_PAD src0_sel:WORD_1 src1_sel:DWORD
	v_fma_f16 v92, v44, v92, -v15
	v_mul_f16_sdwa v15, v47, v62 dst_sel:DWORD dst_unused:UNUSED_PAD src0_sel:WORD_1 src1_sel:DWORD
	s_waitcnt lgkmcnt(8)
	v_lshrrev_b32_e32 v97, 16, v67
	s_waitcnt lgkmcnt(7)
	v_lshrrev_b32_e32 v100, 16, v78
	v_fma_f16 v65, v46, v94, -v1
	v_mul_f16_sdwa v1, v32, v64 dst_sel:DWORD dst_unused:UNUSED_PAD src0_sel:WORD_1 src1_sel:DWORD
	v_lshrrev_b32_e32 v136, 16, v68
	v_fma_f16 v94, v47, v95, -v15
	v_mul_f16_sdwa v15, v33, v67 dst_sel:DWORD dst_unused:UNUSED_PAD src0_sel:WORD_1 src1_sel:DWORD
	v_mul_f16_sdwa v159, v35, v99 dst_sel:DWORD dst_unused:UNUSED_PAD src0_sel:WORD_1 src1_sel:DWORD
	v_fma_f16 v96, v32, v96, -v1
	v_mul_f16_sdwa v1, v35, v75 dst_sel:DWORD dst_unused:UNUSED_PAD src0_sel:WORD_1 src1_sel:DWORD
	v_lshrrev_b32_e32 v80, 16, v19
	v_lshrrev_b32_e32 v93, 16, v16
	s_waitcnt lgkmcnt(6)
	v_lshrrev_b32_e32 v137, 16, v82
	v_lshrrev_b32_e32 v139, 16, v79
	v_fma_f16 v99, v35, v99, -v1
	v_mul_f16_sdwa v1, v37, v68 dst_sel:DWORD dst_unused:UNUSED_PAD src0_sel:WORD_1 src1_sel:DWORD
	v_mul_f16_sdwa v156, v47, v95 dst_sel:DWORD dst_unused:UNUSED_PAD src0_sel:WORD_1 src1_sel:DWORD
	v_mul_f16_sdwa v95, v33, v97 dst_sel:DWORD dst_unused:UNUSED_PAD src0_sel:WORD_1 src1_sel:DWORD
	v_fma_f16 v97, v33, v97, -v15
	v_mul_f16_sdwa v160, v36, v100 dst_sel:DWORD dst_unused:UNUSED_PAD src0_sel:WORD_1 src1_sel:DWORD
	v_mul_f16_sdwa v15, v36, v78 dst_sel:DWORD dst_unused:UNUSED_PAD src0_sel:WORD_1 src1_sel:DWORD
	v_fma_f16 v81, v37, v136, -v1
	v_mul_f16_sdwa v1, v28, v79 dst_sel:DWORD dst_unused:UNUSED_PAD src0_sel:WORD_1 src1_sel:DWORD
	v_lshrrev_b32_e32 v141, 16, v83
	v_mul_f16_sdwa v153, v42, v80 dst_sel:DWORD dst_unused:UNUSED_PAD src0_sel:WORD_1 src1_sel:DWORD
	v_mul_f16_sdwa v17, v42, v19 dst_sel:DWORD dst_unused:UNUSED_PAD src0_sel:WORD_1 src1_sel:DWORD
	;; [unrolled: 1-line block ×3, first 2 shown]
	v_fmac_f16_e32 v61, v44, v63
	v_fmac_f16_e32 v160, v36, v78
	v_fma_f16 v78, v36, v100, -v15
	v_mul_f16_sdwa v100, v38, v137 dst_sel:DWORD dst_unused:UNUSED_PAD src0_sel:WORD_1 src1_sel:DWORD
	v_mul_f16_sdwa v15, v38, v82 dst_sel:DWORD dst_unused:UNUSED_PAD src0_sel:WORD_1 src1_sel:DWORD
	v_fma_f16 v44, v28, v139, -v1
	v_mul_f16_sdwa v1, v30, v83 dst_sel:DWORD dst_unused:UNUSED_PAD src0_sel:WORD_1 src1_sel:DWORD
	v_lshrrev_b32_e32 v98, 16, v66
	v_lshrrev_b32_e32 v138, 16, v76
	s_waitcnt lgkmcnt(5)
	v_lshrrev_b32_e32 v140, 16, v84
	v_lshrrev_b32_e32 v144, 16, v85
	v_fmac_f16_e32 v153, v42, v19
	v_fma_f16 v42, v42, v80, -v17
	v_mul_f16_sdwa v17, v45, v16 dst_sel:DWORD dst_unused:UNUSED_PAD src0_sel:WORD_1 src1_sel:DWORD
	v_fmac_f16_e32 v77, v45, v16
	v_mul_f16_sdwa v16, v34, v66 dst_sel:DWORD dst_unused:UNUSED_PAD src0_sel:WORD_1 src1_sel:DWORD
	v_fmac_f16_e32 v100, v38, v82
	v_fma_f16 v82, v38, v137, -v15
	v_mul_f16_sdwa v15, v29, v84 dst_sel:DWORD dst_unused:UNUSED_PAD src0_sel:WORD_1 src1_sel:DWORD
	v_fma_f16 v63, v30, v141, -v1
	v_mul_f16_sdwa v1, v25, v85 dst_sel:DWORD dst_unused:UNUSED_PAD src0_sel:WORD_1 src1_sel:DWORD
	s_waitcnt lgkmcnt(4)
	v_lshrrev_b32_e32 v142, 16, v86
	s_waitcnt lgkmcnt(3)
	v_lshrrev_b32_e32 v143, 16, v88
	;; [unrolled: 2-line block ×3, first 2 shown]
	v_lshrrev_b32_e32 v146, 16, v87
	v_lshrrev_b32_e32 v150, 16, v18
	v_fma_f16 v93, v45, v93, -v17
	v_fmac_f16_e32 v157, v32, v64
	v_mul_f16_sdwa v158, v34, v98 dst_sel:DWORD dst_unused:UNUSED_PAD src0_sel:WORD_1 src1_sel:DWORD
	v_fma_f16 v98, v34, v98, -v16
	v_mul_f16_sdwa v80, v37, v136 dst_sel:DWORD dst_unused:UNUSED_PAD src0_sel:WORD_1 src1_sel:DWORD
	v_mul_f16_sdwa v161, v39, v138 dst_sel:DWORD dst_unused:UNUSED_PAD src0_sel:WORD_1 src1_sel:DWORD
	;; [unrolled: 1-line block ×3, first 2 shown]
	v_fma_f16 v45, v29, v140, -v15
	v_mul_f16_sdwa v15, v31, v86 dst_sel:DWORD dst_unused:UNUSED_PAD src0_sel:WORD_1 src1_sel:DWORD
	v_fma_f16 v32, v25, v144, -v1
	v_mul_f16_sdwa v1, v27, v87 dst_sel:DWORD dst_unused:UNUSED_PAD src0_sel:WORD_1 src1_sel:DWORD
	v_lshrrev_b32_e32 v147, 16, v89
	v_lshrrev_b32_e32 v151, 16, v91
	s_waitcnt lgkmcnt(1)
	v_lshrrev_b32_e32 v152, 16, v101
	v_fmac_f16_e32 v156, v47, v62
	v_fmac_f16_e32 v158, v34, v66
	;; [unrolled: 1-line block ×4, first 2 shown]
	v_fma_f16 v136, v39, v138, -v16
	v_mul_f16_sdwa v66, v28, v139 dst_sel:DWORD dst_unused:UNUSED_PAD src0_sel:WORD_1 src1_sel:DWORD
	v_mul_f16_sdwa v47, v30, v141 dst_sel:DWORD dst_unused:UNUSED_PAD src0_sel:WORD_1 src1_sel:DWORD
	;; [unrolled: 1-line block ×5, first 2 shown]
	v_fma_f16 v64, v31, v142, -v15
	v_mul_f16_sdwa v36, v26, v145 dst_sel:DWORD dst_unused:UNUSED_PAD src0_sel:WORD_1 src1_sel:DWORD
	v_mul_f16_sdwa v15, v26, v90 dst_sel:DWORD dst_unused:UNUSED_PAD src0_sel:WORD_1 src1_sel:DWORD
	;; [unrolled: 1-line block ×4, first 2 shown]
	v_fma_f16 v38, v27, v146, -v1
	v_add_f16_e32 v1, v149, v153
	v_fmac_f16_e32 v95, v33, v67
	v_mul_f16_sdwa v46, v29, v140 dst_sel:DWORD dst_unused:UNUSED_PAD src0_sel:WORD_1 src1_sel:DWORD
	v_fmac_f16_e32 v66, v28, v79
	v_fmac_f16_e32 v47, v30, v83
	;; [unrolled: 1-line block ×4, first 2 shown]
	v_fma_f16 v28, v24, v143, -v16
	v_mul_f16_sdwa v33, v25, v144 dst_sel:DWORD dst_unused:UNUSED_PAD src0_sel:WORD_1 src1_sel:DWORD
	v_fmac_f16_e32 v36, v26, v90
	v_fma_f16 v34, v26, v145, -v15
	v_fmac_f16_e32 v39, v27, v87
	v_mul_f16_sdwa v19, v20, v147 dst_sel:DWORD dst_unused:UNUSED_PAD src0_sel:WORD_1 src1_sel:DWORD
	v_mul_f16_sdwa v15, v20, v89 dst_sel:DWORD dst_unused:UNUSED_PAD src0_sel:WORD_1 src1_sel:DWORD
	v_mul_f16_sdwa v16, v21, v18 dst_sel:DWORD dst_unused:UNUSED_PAD src0_sel:WORD_1 src1_sel:DWORD
	v_fmac_f16_e32 v17, v21, v18
	v_mul_f16_sdwa v24, v22, v151 dst_sel:DWORD dst_unused:UNUSED_PAD src0_sel:WORD_1 src1_sel:DWORD
	v_mul_f16_sdwa v18, v22, v91 dst_sel:DWORD dst_unused:UNUSED_PAD src0_sel:WORD_1 src1_sel:DWORD
	;; [unrolled: 1-line block ×3, first 2 shown]
	v_fma_f16 v1, -0.5, v1, v2
	v_sub_f16_e32 v27, v40, v43
	v_add_f16_e32 v30, v148, v154
	v_mul_f16_sdwa v31, v23, v101 dst_sel:DWORD dst_unused:UNUSED_PAD src0_sel:WORD_1 src1_sel:DWORD
	v_fmac_f16_e32 v159, v35, v75
	v_fmac_f16_e32 v46, v29, v84
	v_fmac_f16_e32 v33, v25, v85
	v_fmac_f16_e32 v19, v20, v89
	v_fma_f16 v15, v20, v147, -v15
	v_fma_f16 v16, v21, v150, -v16
	v_add_f16_e32 v21, v2, v148
	v_fmac_f16_e32 v24, v22, v91
	v_fma_f16 v20, v22, v151, -v18
	v_fmac_f16_e32 v26, v23, v101
	v_fmamk_f16 v18, v27, 0xbb9c, v1
	v_sub_f16_e32 v25, v41, v42
	v_sub_f16_e32 v22, v148, v149
	;; [unrolled: 1-line block ×3, first 2 shown]
	v_fma_f16 v2, -0.5, v30, v2
	v_fma_f16 v23, v23, v152, -v31
	v_fmac_f16_e32 v1, 0x3b9c, v27
	v_sub_f16_e32 v30, v149, v148
	v_sub_f16_e32 v31, v153, v154
	v_add_f16_e32 v35, v9, v40
	v_add_f16_e32 v62, v41, v42
	v_fmac_f16_e32 v18, 0xb8b4, v25
	v_add_f16_e32 v29, v22, v29
	v_fmamk_f16 v22, v25, 0x3b9c, v2
	v_fmac_f16_e32 v1, 0x38b4, v25
	v_add_f16_e32 v30, v30, v31
	v_fmac_f16_e32 v2, 0xbb9c, v25
	v_add_f16_e32 v31, v35, v41
	v_fma_f16 v25, -0.5, v62, v9
	v_sub_f16_e32 v62, v148, v154
	v_fmac_f16_e32 v18, 0x34f2, v29
	v_fmac_f16_e32 v22, 0xb8b4, v27
	v_fmac_f16_e32 v1, 0x34f2, v29
	v_fmac_f16_e32 v2, 0x38b4, v27
	v_add_f16_e32 v29, v31, v42
	v_fmamk_f16 v27, v62, 0x3b9c, v25
	v_add_f16_e32 v31, v40, v43
	v_sub_f16_e32 v35, v149, v153
	v_sub_f16_e32 v67, v40, v41
	;; [unrolled: 1-line block ×3, first 2 shown]
	v_fmac_f16_e32 v25, 0xbb9c, v62
	v_fmac_f16_e32 v9, -0.5, v31
	v_fmac_f16_e32 v27, 0x38b4, v35
	v_sub_f16_e32 v31, v41, v40
	v_add_f16_e32 v67, v67, v75
	v_sub_f16_e32 v40, v42, v43
	v_add_f16_e32 v41, v77, v155
	v_fmac_f16_e32 v25, 0xb8b4, v35
	v_lshrrev_b32_e32 v11, 16, v3
	v_fmac_f16_e32 v22, 0x34f2, v30
	v_fmac_f16_e32 v2, 0x34f2, v30
	v_add_f16_e32 v29, v29, v43
	v_fmamk_f16 v30, v35, 0xbb9c, v9
	v_fmac_f16_e32 v27, 0x34f2, v67
	v_add_f16_e32 v40, v31, v40
	v_add_f16_e32 v42, v3, v61
	v_fma_f16 v31, -0.5, v41, v3
	v_sub_f16_e32 v43, v92, v94
	v_fmac_f16_e32 v25, 0x34f2, v67
	v_fmac_f16_e32 v9, 0x3b9c, v35
	v_sub_f16_e32 v67, v61, v77
	v_sub_f16_e32 v75, v156, v155
	v_add_f16_e32 v76, v61, v156
	v_fmac_f16_e32 v30, 0x38b4, v62
	v_add_f16_e32 v41, v42, v77
	v_fmamk_f16 v35, v43, 0xbb9c, v31
	v_sub_f16_e32 v42, v93, v65
	v_fmac_f16_e32 v9, 0xb8b4, v62
	v_add_f16_e32 v62, v67, v75
	v_fmac_f16_e32 v3, -0.5, v76
	v_fmac_f16_e32 v31, 0x3b9c, v43
	v_sub_f16_e32 v67, v77, v61
	v_sub_f16_e32 v75, v155, v156
	v_add_f16_e32 v76, v11, v92
	v_fmac_f16_e32 v30, 0x34f2, v40
	v_fmac_f16_e32 v35, 0xb8b4, v42
	;; [unrolled: 1-line block ×3, first 2 shown]
	v_fmamk_f16 v40, v42, 0x3b9c, v3
	v_fmac_f16_e32 v31, 0x38b4, v42
	v_add_f16_e32 v79, v93, v65
	v_add_f16_e32 v67, v67, v75
	v_fmac_f16_e32 v3, 0xbb9c, v42
	v_add_f16_e32 v75, v76, v93
	v_fmac_f16_e32 v35, 0x34f2, v62
	v_fmac_f16_e32 v40, 0xb8b4, v43
	v_fma_f16 v42, -0.5, v79, v11
	v_sub_f16_e32 v76, v61, v156
	v_fmac_f16_e32 v31, 0x34f2, v62
	v_fmac_f16_e32 v3, 0x38b4, v43
	v_add_f16_e32 v61, v75, v65
	v_add_f16_e32 v62, v92, v94
	v_sub_f16_e32 v75, v77, v155
	v_sub_f16_e32 v77, v92, v93
	;; [unrolled: 1-line block ×3, first 2 shown]
	v_fmac_f16_e32 v40, 0x34f2, v67
	v_fmamk_f16 v43, v76, 0x3b9c, v42
	v_fmac_f16_e32 v3, 0x34f2, v67
	v_fmac_f16_e32 v11, -0.5, v62
	v_add_f16_e32 v67, v77, v79
	v_fmac_f16_e32 v42, 0xbb9c, v76
	v_sub_f16_e32 v77, v93, v92
	v_sub_f16_e32 v65, v65, v94
	v_add_f16_e32 v79, v95, v158
	v_add_f16_e32 v62, v61, v94
	v_fmac_f16_e32 v43, 0x38b4, v75
	v_fmamk_f16 v61, v75, 0xbb9c, v11
	v_fmac_f16_e32 v42, 0xb8b4, v75
	v_add_f16_e32 v77, v77, v65
	v_add_f16_e32 v83, v4, v157
	v_fma_f16 v65, -0.5, v79, v4
	v_sub_f16_e32 v79, v96, v99
	v_fmac_f16_e32 v11, 0x3b9c, v75
	v_lshrrev_b32_e32 v14, 16, v4
	v_fmac_f16_e32 v43, 0x34f2, v67
	v_fmac_f16_e32 v61, 0x38b4, v76
	v_fmac_f16_e32 v42, 0x34f2, v67
	v_add_f16_e32 v75, v83, v95
	v_fmamk_f16 v67, v79, 0xbb9c, v65
	v_sub_f16_e32 v83, v97, v98
	v_sub_f16_e32 v84, v157, v95
	;; [unrolled: 1-line block ×3, first 2 shown]
	v_add_f16_e32 v86, v157, v159
	v_fmac_f16_e32 v11, 0xb8b4, v76
	v_fmac_f16_e32 v65, 0x3b9c, v79
	;; [unrolled: 1-line block ×3, first 2 shown]
	v_add_f16_e32 v75, v75, v158
	v_fmac_f16_e32 v67, 0xb8b4, v83
	v_add_f16_e32 v84, v84, v85
	v_fma_f16 v4, -0.5, v86, v4
	v_fmac_f16_e32 v11, 0x34f2, v77
	v_sub_f16_e32 v77, v95, v157
	v_sub_f16_e32 v85, v158, v159
	v_fmac_f16_e32 v65, 0x38b4, v83
	v_add_f16_e32 v86, v14, v96
	v_add_f16_e32 v87, v97, v98
	;; [unrolled: 1-line block ×3, first 2 shown]
	v_fmac_f16_e32 v67, 0x34f2, v84
	v_fmamk_f16 v75, v83, 0x3b9c, v4
	v_add_f16_e32 v85, v77, v85
	v_fmac_f16_e32 v4, 0xbb9c, v83
	v_add_f16_e32 v83, v86, v97
	v_fma_f16 v77, -0.5, v87, v14
	v_sub_f16_e32 v86, v157, v159
	v_fmac_f16_e32 v65, 0x34f2, v84
	v_add_f16_e32 v84, v96, v99
	v_sub_f16_e32 v88, v96, v97
	v_sub_f16_e32 v89, v99, v98
	v_fmac_f16_e32 v75, 0xb8b4, v79
	v_fmac_f16_e32 v4, 0x38b4, v79
	v_fmamk_f16 v79, v86, 0x3b9c, v77
	v_sub_f16_e32 v87, v95, v158
	v_fmac_f16_e32 v14, -0.5, v84
	v_add_f16_e32 v84, v88, v89
	v_fmac_f16_e32 v77, 0xbb9c, v86
	v_sub_f16_e32 v88, v97, v96
	v_sub_f16_e32 v89, v98, v99
	v_add_f16_e32 v90, v80, v100
	v_lshrrev_b32_e32 v12, 16, v5
	v_fmac_f16_e32 v75, 0x34f2, v85
	v_fmac_f16_e32 v4, 0x34f2, v85
	;; [unrolled: 1-line block ×3, first 2 shown]
	v_fmamk_f16 v85, v87, 0xbb9c, v14
	v_fmac_f16_e32 v77, 0xb8b4, v87
	v_add_f16_e32 v88, v88, v89
	v_add_f16_e32 v89, v5, v160
	v_fma_f16 v90, -0.5, v90, v5
	v_sub_f16_e32 v91, v78, v136
	v_fmac_f16_e32 v14, 0x3b9c, v87
	v_sub_f16_e32 v92, v160, v80
	v_sub_f16_e32 v93, v161, v100
	v_add_f16_e32 v94, v160, v161
	v_fmac_f16_e32 v79, 0x34f2, v84
	v_fmac_f16_e32 v85, 0x38b4, v86
	;; [unrolled: 1-line block ×3, first 2 shown]
	v_add_f16_e32 v84, v89, v80
	v_fmamk_f16 v87, v91, 0xbb9c, v90
	v_sub_f16_e32 v89, v81, v82
	v_fmac_f16_e32 v14, 0xb8b4, v86
	v_add_f16_e32 v86, v92, v93
	v_fmac_f16_e32 v5, -0.5, v94
	v_fmac_f16_e32 v90, 0x3b9c, v91
	v_sub_f16_e32 v92, v80, v160
	v_sub_f16_e32 v93, v100, v161
	v_add_f16_e32 v94, v12, v78
	v_add_f16_e32 v95, v81, v82
	v_fmac_f16_e32 v85, 0x34f2, v88
	v_fmac_f16_e32 v87, 0xb8b4, v89
	;; [unrolled: 1-line block ×3, first 2 shown]
	v_fmamk_f16 v88, v89, 0x3b9c, v5
	v_fmac_f16_e32 v90, 0x38b4, v89
	v_add_f16_e32 v92, v92, v93
	v_fmac_f16_e32 v5, 0xbb9c, v89
	v_add_f16_e32 v89, v94, v81
	v_fma_f16 v93, -0.5, v95, v12
	v_sub_f16_e32 v94, v160, v161
	v_fmac_f16_e32 v87, 0x34f2, v86
	v_fmac_f16_e32 v88, 0xb8b4, v91
	;; [unrolled: 1-line block ×4, first 2 shown]
	v_add_f16_e32 v86, v89, v82
	v_fmamk_f16 v89, v94, 0x3b9c, v93
	v_add_f16_e32 v91, v78, v136
	v_sub_f16_e32 v80, v80, v100
	v_sub_f16_e32 v95, v78, v81
	;; [unrolled: 1-line block ×3, first 2 shown]
	v_fmac_f16_e32 v93, 0xbb9c, v94
	v_sub_f16_e32 v78, v81, v78
	v_sub_f16_e32 v81, v82, v136
	v_add_f16_e32 v82, v46, v47
	v_fmac_f16_e32 v12, -0.5, v91
	v_fmac_f16_e32 v89, 0x38b4, v80
	v_add_f16_e32 v91, v95, v96
	v_fmac_f16_e32 v93, 0xb8b4, v80
	v_add_f16_e32 v78, v78, v81
	s_waitcnt lgkmcnt(0)
	v_add_f16_e32 v81, v6, v66
	v_fma_f16 v82, -0.5, v82, v6
	v_sub_f16_e32 v95, v44, v64
	v_lshrrev_b32_e32 v13, 16, v6
	v_add_f16_e32 v83, v83, v98
	v_fmac_f16_e32 v88, 0x34f2, v92
	v_fmac_f16_e32 v5, 0x34f2, v92
	v_fmamk_f16 v92, v80, 0xbb9c, v12
	v_fmac_f16_e32 v89, 0x34f2, v91
	v_fmac_f16_e32 v93, 0x34f2, v91
	;; [unrolled: 1-line block ×3, first 2 shown]
	v_add_f16_e32 v80, v81, v46
	v_fmamk_f16 v81, v95, 0xbb9c, v82
	v_sub_f16_e32 v91, v45, v63
	v_sub_f16_e32 v96, v66, v46
	;; [unrolled: 1-line block ×3, first 2 shown]
	v_add_f16_e32 v98, v66, v68
	v_fmac_f16_e32 v82, 0x3b9c, v95
	v_add_f16_e32 v83, v83, v99
	v_fmac_f16_e32 v92, 0x38b4, v94
	v_fmac_f16_e32 v12, 0xb8b4, v94
	v_add_f16_e32 v80, v80, v47
	v_fmac_f16_e32 v81, 0xb8b4, v91
	v_add_f16_e32 v94, v96, v97
	v_fma_f16 v6, -0.5, v98, v6
	v_sub_f16_e32 v96, v46, v66
	v_sub_f16_e32 v97, v47, v68
	v_fmac_f16_e32 v82, 0x38b4, v91
	v_add_f16_e32 v98, v13, v44
	v_add_f16_e32 v99, v45, v63
	v_fmac_f16_e32 v92, 0x34f2, v78
	v_fmac_f16_e32 v12, 0x34f2, v78
	v_add_f16_e32 v78, v80, v68
	v_fmac_f16_e32 v81, 0x34f2, v94
	v_fmamk_f16 v80, v91, 0x3b9c, v6
	v_add_f16_e32 v96, v96, v97
	v_fmac_f16_e32 v6, 0xbb9c, v91
	v_add_f16_e32 v91, v98, v45
	v_fma_f16 v97, -0.5, v99, v13
	v_sub_f16_e32 v66, v66, v68
	v_fmac_f16_e32 v82, 0x34f2, v94
	v_add_f16_e32 v94, v44, v64
	v_sub_f16_e32 v46, v46, v47
	v_sub_f16_e32 v47, v44, v45
	;; [unrolled: 1-line block ×4, first 2 shown]
	v_fmac_f16_e32 v80, 0xb8b4, v95
	v_fmac_f16_e32 v6, 0x38b4, v95
	v_add_f16_e32 v68, v91, v63
	v_fmamk_f16 v91, v66, 0x3b9c, v97
	v_sub_f16_e32 v95, v64, v63
	v_fmac_f16_e32 v13, -0.5, v94
	v_fmac_f16_e32 v97, 0xbb9c, v66
	v_add_f16_e32 v44, v44, v45
	v_add_f16_e32 v45, v7, v37
	v_fmac_f16_e32 v91, 0x38b4, v46
	v_add_f16_e32 v47, v47, v95
	v_fmamk_f16 v94, v46, 0xbb9c, v13
	v_add_f16_e32 v63, v33, v36
	v_fmac_f16_e32 v97, 0xb8b4, v46
	v_fmac_f16_e32 v13, 0x3b9c, v46
	v_add_f16_e32 v45, v45, v33
	v_add_f16_e32 v98, v37, v39
	v_lshrrev_b32_e32 v10, 16, v7
	v_fmac_f16_e32 v80, 0x34f2, v96
	v_fmac_f16_e32 v6, 0x34f2, v96
	v_add_f16_e32 v68, v68, v64
	v_fmac_f16_e32 v91, 0x34f2, v47
	v_fmac_f16_e32 v94, 0x38b4, v66
	v_fma_f16 v63, -0.5, v63, v7
	v_sub_f16_e32 v64, v28, v38
	v_fmac_f16_e32 v97, 0x34f2, v47
	v_sub_f16_e32 v47, v32, v34
	v_sub_f16_e32 v95, v37, v33
	v_sub_f16_e32 v96, v39, v36
	v_fmac_f16_e32 v13, 0xb8b4, v66
	v_add_f16_e32 v45, v45, v36
	v_fmac_f16_e32 v7, -0.5, v98
	v_fmac_f16_e32 v94, 0x34f2, v44
	v_fmamk_f16 v46, v64, 0xbb9c, v63
	v_add_f16_e32 v66, v95, v96
	v_fmac_f16_e32 v13, 0x34f2, v44
	v_add_f16_e32 v44, v45, v39
	v_fmac_f16_e32 v63, 0x3b9c, v64
	v_fmamk_f16 v45, v47, 0x3b9c, v7
	v_sub_f16_e32 v95, v33, v37
	v_sub_f16_e32 v96, v36, v39
	v_add_f16_e32 v98, v10, v28
	v_add_f16_e32 v99, v32, v34
	v_fmac_f16_e32 v7, 0xbb9c, v47
	v_fmac_f16_e32 v46, 0xb8b4, v47
	v_fmac_f16_e32 v63, 0x38b4, v47
	v_fmac_f16_e32 v45, 0xb8b4, v64
	v_add_f16_e32 v95, v95, v96
	v_add_f16_e32 v47, v98, v32
	v_fma_f16 v96, -0.5, v99, v10
	v_sub_f16_e32 v37, v37, v39
	v_fmac_f16_e32 v7, 0x38b4, v64
	v_add_f16_e32 v64, v28, v38
	v_fmac_f16_e32 v46, 0x34f2, v66
	v_fmac_f16_e32 v63, 0x34f2, v66
	v_add_f16_e32 v39, v47, v34
	v_fmamk_f16 v47, v37, 0x3b9c, v96
	v_sub_f16_e32 v33, v33, v36
	v_sub_f16_e32 v36, v28, v32
	;; [unrolled: 1-line block ×3, first 2 shown]
	v_fmac_f16_e32 v10, -0.5, v64
	v_fmac_f16_e32 v96, 0xbb9c, v37
	v_sub_f16_e32 v28, v32, v28
	v_sub_f16_e32 v32, v34, v38
	v_add_f16_e32 v34, v17, v24
	v_fmac_f16_e32 v47, 0x38b4, v33
	v_add_f16_e32 v36, v36, v66
	v_fmamk_f16 v64, v33, 0xbb9c, v10
	v_fmac_f16_e32 v96, 0xb8b4, v33
	v_add_f16_e32 v28, v28, v32
	v_fmac_f16_e32 v10, 0x3b9c, v33
	v_add_f16_e32 v32, v0, v19
	v_fma_f16 v33, -0.5, v34, v0
	v_sub_f16_e32 v34, v15, v23
	v_fmac_f16_e32 v45, 0x34f2, v95
	v_fmac_f16_e32 v7, 0x34f2, v95
	v_add_f16_e32 v39, v39, v38
	v_fmac_f16_e32 v47, 0x34f2, v36
	v_fmac_f16_e32 v64, 0x38b4, v37
	;; [unrolled: 1-line block ×4, first 2 shown]
	v_add_f16_e32 v32, v32, v17
	v_fmamk_f16 v36, v34, 0xbb9c, v33
	v_sub_f16_e32 v37, v16, v20
	v_sub_f16_e32 v38, v19, v17
	;; [unrolled: 1-line block ×3, first 2 shown]
	v_fmac_f16_e32 v33, 0x3b9c, v34
	v_add_f16_e32 v95, v19, v26
	v_lshrrev_b32_e32 v8, 16, v0
	v_add_f16_e32 v32, v32, v24
	v_fmac_f16_e32 v36, 0xb8b4, v37
	v_add_f16_e32 v38, v38, v66
	v_fmac_f16_e32 v33, 0x38b4, v37
	v_fmac_f16_e32 v0, -0.5, v95
	v_sub_f16_e32 v66, v17, v19
	v_sub_f16_e32 v95, v24, v26
	v_fmac_f16_e32 v64, 0x34f2, v28
	v_fmac_f16_e32 v10, 0x34f2, v28
	v_add_f16_e32 v28, v32, v26
	v_fmac_f16_e32 v36, 0x34f2, v38
	v_fmac_f16_e32 v33, 0x34f2, v38
	v_fmamk_f16 v32, v37, 0x3b9c, v0
	v_add_f16_e32 v38, v16, v20
	v_fmac_f16_e32 v0, 0xbb9c, v37
	v_sub_f16_e32 v19, v19, v26
	v_add_f16_e32 v26, v66, v95
	v_add_f16_e32 v66, v15, v23
	;; [unrolled: 1-line block ×3, first 2 shown]
	v_fma_f16 v38, -0.5, v38, v8
	v_fmac_f16_e32 v32, 0xb8b4, v34
	v_fmac_f16_e32 v0, 0x38b4, v34
	v_sub_f16_e32 v17, v17, v24
	v_fmac_f16_e32 v8, -0.5, v66
	v_add_f16_e32 v21, v21, v149
	v_add_f16_e32 v34, v37, v16
	v_fmac_f16_e32 v32, 0x34f2, v26
	v_fmac_f16_e32 v0, 0x34f2, v26
	v_sub_f16_e32 v26, v15, v16
	v_fmamk_f16 v66, v17, 0xbb9c, v8
	v_sub_f16_e32 v15, v16, v15
	v_sub_f16_e32 v16, v20, v23
	v_fmac_f16_e32 v8, 0x3b9c, v17
	v_add_f16_e32 v21, v21, v153
	v_add_f16_e32 v41, v41, v155
	v_fmac_f16_e32 v66, 0x38b4, v19
	v_add_f16_e32 v15, v15, v16
	v_fmac_f16_e32 v8, 0xb8b4, v19
	v_fmamk_f16 v37, v19, 0x3b9c, v38
	v_fmac_f16_e32 v38, 0xbb9c, v19
	v_add_f16_e32 v21, v21, v154
	v_add_f16_e32 v41, v41, v156
	v_fmac_f16_e32 v66, 0x34f2, v15
	v_fmac_f16_e32 v8, 0x34f2, v15
	v_pack_b32_f16 v15, v18, v27
	v_pack_b32_f16 v2, v2, v9
	v_fmac_f16_e32 v37, 0x38b4, v17
	v_fmac_f16_e32 v38, 0xb8b4, v17
	v_pack_b32_f16 v17, v22, v30
	v_pack_b32_f16 v1, v1, v25
	v_add_f16_e32 v84, v84, v100
	v_pack_b32_f16 v18, v21, v29
	ds_write_b32 v102, v15 offset:1568
	ds_write_b32 v102, v17 offset:3136
	v_pack_b32_f16 v9, v41, v62
	ds_write_b32 v102, v2 offset:4704
	ds_write_b32 v102, v1 offset:6272
	v_pack_b32_f16 v1, v40, v61
	v_pack_b32_f16 v2, v3, v11
	v_add_f16_e32 v84, v84, v161
	v_add_f16_e32 v86, v86, v136
	ds_write2_b32 v102, v18, v9 offset1:56
	v_pack_b32_f16 v3, v31, v42
	v_pack_b32_f16 v9, v35, v43
	ds_write_b32 v102, v1 offset:3360
	ds_write_b32 v102, v2 offset:4928
	v_pack_b32_f16 v1, v67, v79
	v_pack_b32_f16 v2, v76, v83
	ds_write_b32 v102, v3 offset:6496
	v_pack_b32_f16 v3, v4, v14
	v_pack_b32_f16 v4, v65, v77
	ds_write2_b32 v69, v9, v1 offset0:192 offset1:248
	v_pack_b32_f16 v9, v84, v86
	v_pack_b32_f16 v1, v75, v85
	ds_write_b32 v102, v3 offset:5152
	ds_write_b32 v102, v4 offset:6720
	v_pack_b32_f16 v3, v88, v92
	v_add_f16_e32 v24, v34, v20
	ds_write2_b32 v102, v2, v9 offset0:112 offset1:168
	v_pack_b32_f16 v2, v90, v93
	v_sub_f16_e32 v34, v23, v20
	v_pack_b32_f16 v4, v5, v12
	v_pack_b32_f16 v5, v87, v89
	ds_write2_b32 v60, v1, v3 offset0:128 offset1:184
	ds_write_b32 v102, v4 offset:5376
	v_pack_b32_f16 v1, v81, v91
	ds_write_b32 v102, v2 offset:6944
	v_pack_b32_f16 v2, v6, v13
	v_pack_b32_f16 v4, v82, v97
	v_add_f16_e32 v20, v26, v34
	v_add_f16_e32 v16, v24, v23
	v_pack_b32_f16 v3, v78, v68
	ds_write2_b32 v73, v5, v1 offset0:48 offset1:104
	v_pack_b32_f16 v1, v80, v94
	ds_write_b32 v102, v2 offset:5600
	v_pack_b32_f16 v2, v44, v39
	ds_write_b32 v102, v4 offset:7168
	v_pack_b32_f16 v4, v45, v64
	v_fmac_f16_e32 v37, 0x34f2, v20
	v_pack_b32_f16 v5, v7, v10
	v_pack_b32_f16 v6, v63, v96
	v_fmac_f16_e32 v38, 0x34f2, v20
	ds_write2_b32 v72, v3, v2 offset0:96 offset1:152
	ds_write2_b32 v74, v1, v4 offset0:112 offset1:168
	ds_write_b32 v102, v5 offset:5824
	ds_write_b32 v102, v6 offset:7392
	v_pack_b32_f16 v1, v28, v16
	v_pack_b32_f16 v2, v46, v47
	;; [unrolled: 1-line block ×6, first 2 shown]
	ds_write_b32 v102, v1 offset:1344
	ds_write2_b32 v73, v2, v3 offset0:160 offset1:216
	ds_write_b32 v102, v4 offset:4480
	ds_write_b32 v102, v0 offset:6048
	;; [unrolled: 1-line block ×3, first 2 shown]
	s_waitcnt lgkmcnt(0)
	s_barrier
	buffer_gl0_inv
	ds_read2_b32 v[4:5], v102 offset1:56
	v_mad_u64_u32 v[8:9], null, s10, v58, 0
	s_mul_i32 s10, s8, 0xffffe9e8
	s_waitcnt lgkmcnt(0)
	v_lshrrev_b32_e32 v2, 16, v4
	v_mul_f16_sdwa v3, v135, v4 dst_sel:DWORD dst_unused:UNUSED_PAD src0_sel:WORD_1 src1_sel:DWORD
	v_mul_f16_sdwa v0, v135, v2 dst_sel:DWORD dst_unused:UNUSED_PAD src0_sel:WORD_1 src1_sel:DWORD
	v_fma_f16 v2, v135, v2, -v3
	v_fmac_f16_e32 v0, v135, v4
	v_cvt_f32_f16_e32 v4, v2
	v_cvt_f32_f16_e32 v0, v0
	v_cvt_f64_f32_e32 v[0:1], v0
	v_mul_f64 v[2:3], v[0:1], s[4:5]
	v_cvt_f64_f32_e32 v[0:1], v4
	v_and_or_b32 v2, 0x1ff, v3, v2
	v_mul_f64 v[6:7], v[0:1], s[4:5]
	v_add_nc_u32_e32 v1, 0x600, v102
	v_lshrrev_b32_e32 v4, 8, v3
	v_bfe_u32 v10, v3, 20, 11
	v_cmp_ne_u32_e64 s0, 0, v2
	v_lshrrev_b32_e32 v3, 16, v3
	ds_read2_b32 v[1:2], v1 offset0:106 offset1:162
	v_add_nc_u32_e32 v16, 0xfffffc10, v10
	v_cndmask_b32_e64 v0, 0, 1, s0
	v_cmp_eq_u32_e64 s2, 0x40f, v16
	v_and_or_b32 v4, 0xffe, v4, v0
	v_sub_nc_u32_e32 v0, 0x3f1, v10
	v_or_b32_e32 v11, 0x1000, v4
	v_med3_i32 v0, v0, 0, 13
	v_and_or_b32 v6, 0x1ff, v7, v6
	v_lshrrev_b32_e32 v14, 8, v7
	v_bfe_u32 v15, v7, 20, 11
	v_lshrrev_b32_e32 v12, v0, v11
	s_waitcnt lgkmcnt(0)
	v_lshrrev_b32_e32 v13, 16, v1
	v_cmp_ne_u32_e64 s0, 0, v6
	v_sub_nc_u32_e32 v10, 0x3f1, v15
	v_lshlrev_b32_e32 v0, v0, v12
	v_cndmask_b32_e64 v6, 0, 1, s0
	v_med3_i32 v17, v10, 0, 13
	v_cmp_ne_u32_e64 s0, v0, v11
	v_mul_f16_sdwa v11, v134, v13 dst_sel:DWORD dst_unused:UNUSED_PAD src0_sel:WORD_1 src1_sel:DWORD
	v_and_or_b32 v6, 0xffe, v14, v6
	v_cndmask_b32_e64 v0, 0, 1, s0
	v_fmac_f16_e32 v11, v134, v1
	v_or_b32_e32 v14, 0x1000, v6
	v_cmp_gt_i32_e64 s0, 1, v16
	v_or_b32_e32 v0, v12, v0
	v_lshl_or_b32 v12, v16, 12, v4
	v_lshrrev_b32_e32 v19, v17, v14
	v_cvt_f32_f16_e32 v10, v11
	v_cndmask_b32_e64 v18, v12, v0, s0
	v_lshlrev_b32_e32 v17, v17, v19
	v_mov_b32_e32 v0, v9
	v_cvt_f64_f32_e32 v[9:10], v10
	v_and_b32_e32 v20, 7, v18
	v_cmp_ne_u32_e64 s1, v17, v14
	v_mad_u64_u32 v[11:12], null, s11, v58, v[0:1]
	v_lshrrev_b32_e32 v12, 2, v18
	v_cmp_lt_i32_e64 s0, 5, v20
	v_cndmask_b32_e64 v0, 0, 1, s1
	v_cmp_eq_u32_e64 s1, 3, v20
	v_add_nc_u32_e32 v17, 0xfffffc10, v15
	v_mul_f16_sdwa v1, v134, v1 dst_sel:DWORD dst_unused:UNUSED_PAD src0_sel:WORD_1 src1_sel:DWORD
	v_or_b32_e32 v0, v19, v0
	s_or_b32 s0, s1, s0
	v_lshl_or_b32 v14, v17, 12, v6
	v_add_co_ci_u32_e64 v12, s0, 0, v12, s0
	v_fma_f16 v1, v134, v13, -v1
	v_cmp_gt_i32_e64 s0, 1, v17
	v_cndmask_b32_e64 v13, v14, v0, s0
	v_cvt_f32_f16_e32 v14, v1
	v_cmp_ne_u32_e64 s0, 0, v4
	v_mul_f64 v[0:1], v[9:10], s[4:5]
	v_and_b32_e32 v15, 7, v13
	v_cvt_f64_f32_e32 v[9:10], v14
	v_cndmask_b32_e64 v4, 0, 1, s0
	v_cmp_gt_i32_e64 s0, 31, v16
	v_lshrrev_b32_e32 v13, 2, v13
	v_cmp_eq_u32_e64 s1, 3, v15
	v_lshl_or_b32 v4, v4, 9, 0x7c00
	v_cndmask_b32_e64 v12, 0x7c00, v12, s0
	v_cmp_lt_i32_e64 s0, 5, v15
	v_cndmask_b32_e64 v4, v12, v4, s2
	s_or_b32 s0, s1, s0
	v_add_co_ci_u32_e64 v12, s0, 0, v13, s0
	v_cmp_ne_u32_e64 s0, 0, v6
	v_and_or_b32 v16, 0x8000, v3, v4
	v_and_or_b32 v0, 0x1ff, v1, v0
	v_bfe_u32 v19, v1, 20, 11
	ds_read2_b32 v[3:4], v74 offset0:84 offset1:140
	v_cndmask_b32_e64 v6, 0, 1, s0
	v_cmp_gt_i32_e64 s0, 31, v17
	v_mul_f64 v[14:15], v[9:10], s[4:5]
	v_lshrrev_b32_e32 v10, 8, v1
	v_lshl_or_b32 v6, v6, 9, 0x7c00
	v_cndmask_b32_e64 v18, 0x7c00, v12, s0
	v_mad_u64_u32 v[12:13], null, s8, v133, 0
	v_cmp_ne_u32_e64 s0, 0, v0
	v_cndmask_b32_e64 v9, 0, 1, s0
	v_cmp_eq_u32_e64 s0, 0x40f, v17
	v_mov_b32_e32 v0, v13
	v_cndmask_b32_e64 v17, v18, v6, s0
	v_and_or_b32 v18, 0xffe, v10, v9
	v_sub_nc_u32_e32 v9, 0x3f1, v19
	v_lshrrev_b32_e32 v10, 16, v7
	v_mad_u64_u32 v[6:7], null, s9, v133, v[0:1]
	v_or_b32_e32 v0, 0x1000, v18
	v_med3_i32 v20, v9, 0, 13
	v_and_or_b32 v7, 0x8000, v10, v17
	v_and_b32_e32 v10, 0xffff, v16
	v_mov_b32_e32 v9, v11
	v_bfe_u32 v17, v15, 20, 11
	v_lshrrev_b32_e32 v11, v20, v0
	v_mov_b32_e32 v13, v6
	v_and_or_b32 v6, 0x1ff, v15, v14
	v_lshl_or_b32 v16, v7, 16, v10
	v_lshlrev_b64 v[7:8], 2, v[8:9]
	v_lshlrev_b32_e32 v9, v20, v11
	s_waitcnt lgkmcnt(0)
	v_lshrrev_b32_e32 v14, 16, v3
	v_cmp_ne_u32_e64 s0, 0, v6
	v_lshrrev_b32_e32 v10, 8, v15
	v_add_nc_u32_e32 v19, 0xfffffc10, v19
	v_lshrrev_b32_e32 v15, 16, v15
	v_mul_f16_sdwa v20, v132, v14 dst_sel:DWORD dst_unused:UNUSED_PAD src0_sel:WORD_1 src1_sel:DWORD
	v_cndmask_b32_e64 v6, 0, 1, s0
	v_cmp_ne_u32_e64 s0, v9, v0
	v_sub_nc_u32_e32 v9, 0x3f1, v17
	v_add_nc_u32_e32 v17, 0xfffffc10, v17
	v_fmac_f16_e32 v20, v132, v3
	v_and_or_b32 v6, 0xffe, v10, v6
	v_cndmask_b32_e64 v0, 0, 1, s0
	v_cmp_gt_i32_e64 s0, 1, v19
	v_med3_i32 v22, v9, 0, 13
	v_cvt_f32_f16_e32 v20, v20
	v_or_b32_e32 v21, 0x1000, v6
	v_or_b32_e32 v0, v11, v0
	v_lshl_or_b32 v11, v19, 12, v18
	v_lshlrev_b64 v[9:10], 2, v[12:13]
	v_mul_f16_sdwa v3, v132, v3 dst_sel:DWORD dst_unused:UNUSED_PAD src0_sel:WORD_1 src1_sel:DWORD
	v_lshrrev_b32_e32 v13, v22, v21
	v_cndmask_b32_e64 v0, v11, v0, s0
	v_cvt_f64_f32_e32 v[11:12], v20
	v_add_co_u32 v7, s0, s6, v7
	v_add_co_ci_u32_e64 v8, s0, s7, v8, s0
	v_and_b32_e32 v20, 7, v0
	v_add_co_u32 v9, s0, v7, v9
	v_lshlrev_b32_e32 v22, v22, v13
	v_add_co_ci_u32_e64 v10, s0, v8, v10, s0
	v_cmp_lt_i32_e64 s0, 5, v20
	v_cmp_eq_u32_e64 s1, 3, v20
	v_lshrrev_b32_e32 v0, 2, v0
	v_cmp_ne_u32_e64 s2, v22, v21
	v_fma_f16 v3, v132, v14, -v3
	global_store_dword v[9:10], v16, off
	s_or_b32 s0, s1, s0
	v_lshrrev_b32_e32 v16, 16, v1
	v_add_co_ci_u32_e64 v0, s0, 0, v0, s0
	v_cndmask_b32_e64 v20, 0, 1, s2
	v_cmp_ne_u32_e64 s0, 0, v18
	v_mul_f64 v[11:12], v[11:12], s[4:5]
	v_cvt_f32_f16_e32 v3, v3
	s_mul_i32 s2, s8, 0x1ea
	v_or_b32_e32 v13, v13, v20
	v_lshl_or_b32 v20, v17, 12, v6
	v_cndmask_b32_e64 v14, 0, 1, s0
	v_cmp_gt_i32_e64 s0, 1, v17
	v_cndmask_b32_e64 v18, v20, v13, s0
	v_cmp_gt_i32_e64 s0, 31, v19
	v_lshl_or_b32 v20, v14, 9, 0x7c00
	v_cvt_f64_f32_e32 v[13:14], v3
	v_and_b32_e32 v21, 7, v18
	v_cndmask_b32_e64 v0, 0x7c00, v0, s0
	v_cmp_eq_u32_e64 s0, 0x40f, v19
	v_lshrrev_b32_e32 v18, 2, v18
	v_cmp_eq_u32_e64 s1, 3, v21
	v_and_or_b32 v11, 0x1ff, v12, v11
	v_cndmask_b32_e64 v3, v0, v20, s0
	v_cmp_lt_i32_e64 s0, 5, v21
	ds_read2_b32 v[0:1], v59 offset0:190 offset1:246
	v_lshrrev_b32_e32 v19, 8, v12
	v_bfe_u32 v20, v12, 20, 11
	v_and_or_b32 v3, 0x8000, v16, v3
	s_or_b32 s0, s1, s0
	s_mul_hi_u32 s1, s8, 0x1ea
	v_add_co_ci_u32_e64 v18, s0, 0, v18, s0
	v_cmp_ne_u32_e64 s0, 0, v6
	v_and_b32_e32 v3, 0xffff, v3
	v_mul_f64 v[13:14], v[13:14], s[4:5]
	v_cndmask_b32_e64 v6, 0, 1, s0
	v_cmp_ne_u32_e64 s0, 0, v11
	v_lshl_or_b32 v6, v6, 9, 0x7c00
	v_cndmask_b32_e64 v11, 0, 1, s0
	v_cmp_gt_i32_e64 s0, 31, v17
	v_and_or_b32 v11, 0xffe, v19, v11
	v_cndmask_b32_e64 v18, 0x7c00, v18, s0
	v_sub_nc_u32_e32 v19, 0x3f1, v20
	v_cmp_eq_u32_e64 s0, 0x40f, v17
	s_waitcnt lgkmcnt(0)
	v_lshrrev_b32_e32 v17, 16, v0
	v_med3_i32 v19, v19, 0, 13
	v_cndmask_b32_e64 v6, v18, v6, s0
	v_or_b32_e32 v18, 0x1000, v11
	s_mul_i32 s0, s9, 0x1ea
	v_and_or_b32 v13, 0x1ff, v14, v13
	s_add_i32 s3, s1, s0
	v_and_or_b32 v6, 0x8000, v15, v6
	v_lshrrev_b32_e32 v21, v19, v18
	v_mul_f16_sdwa v15, v131, v17 dst_sel:DWORD dst_unused:UNUSED_PAD src0_sel:WORD_1 src1_sel:DWORD
	s_lshl_b64 s[6:7], s[2:3], 2
	v_lshl_or_b32 v3, v6, 16, v3
	v_lshlrev_b32_e32 v16, v19, v21
	v_fmac_f16_e32 v15, v131, v0
	v_add_nc_u32_e32 v19, 0xfffffc10, v20
	v_bfe_u32 v20, v14, 20, 11
	v_mul_f16_sdwa v0, v131, v0 dst_sel:DWORD dst_unused:UNUSED_PAD src0_sel:WORD_1 src1_sel:DWORD
	v_cmp_ne_u32_e64 s0, v16, v18
	v_cvt_f32_f16_e32 v6, v15
	v_fma_f16 v0, v131, v17, -v0
	v_cndmask_b32_e64 v18, 0, 1, s0
	v_cmp_ne_u32_e64 s0, 0, v13
	v_cvt_f64_f32_e32 v[15:16], v6
	v_lshrrev_b32_e32 v13, 8, v14
	v_cvt_f32_f16_e32 v0, v0
	v_or_b32_e32 v18, v21, v18
	v_cndmask_b32_e64 v6, 0, 1, s0
	v_lshl_or_b32 v21, v19, 12, v11
	v_cmp_gt_i32_e64 s0, 1, v19
	v_and_or_b32 v6, 0xffe, v13, v6
	v_sub_nc_u32_e32 v13, 0x3f1, v20
	v_cndmask_b32_e64 v21, v21, v18, s0
	v_add_co_u32 v9, s0, v9, s6
	v_or_b32_e32 v22, 0x1000, v6
	v_med3_i32 v13, v13, 0, 13
	v_and_b32_e32 v24, 7, v21
	v_add_co_ci_u32_e64 v10, s0, s7, v10, s0
	v_cvt_f64_f32_e32 v[17:18], v0
	v_lshrrev_b32_e32 v23, v13, v22
	v_cmp_lt_i32_e64 s0, 5, v24
	v_cmp_eq_u32_e64 s1, 3, v24
	v_lshrrev_b32_e32 v0, 2, v21
	v_mul_f64 v[15:16], v[15:16], s[4:5]
	global_store_dword v[9:10], v3, off
	v_lshlrev_b32_e32 v3, v13, v23
	s_or_b32 s0, s1, s0
	v_add_nc_u32_e32 v13, 0xfffffc10, v20
	v_add_co_ci_u32_e64 v0, s0, 0, v0, s0
	v_cmp_ne_u32_e64 s2, v3, v22
	v_cmp_ne_u32_e64 s0, 0, v11
	v_lshl_or_b32 v20, v13, 12, v6
	v_cndmask_b32_e64 v3, 0, 1, s2
	v_cndmask_b32_e64 v11, 0, 1, s0
	v_cmp_gt_i32_e64 s0, 31, v19
	v_or_b32_e32 v3, v23, v3
	v_lshl_or_b32 v11, v11, 9, 0x7c00
	v_cndmask_b32_e64 v0, 0x7c00, v0, s0
	v_cmp_gt_i32_e64 s0, 1, v13
	v_and_or_b32 v15, 0x1ff, v16, v15
	v_bfe_u32 v21, v16, 20, 11
	v_cndmask_b32_e64 v3, v20, v3, s0
	v_cmp_eq_u32_e64 s0, 0x40f, v19
	v_lshrrev_b32_e32 v19, 16, v12
	v_lshrrev_b32_e32 v20, 16, v5
	v_cndmask_b32_e64 v0, v0, v11, s0
	v_mul_f64 v[11:12], v[17:18], s[4:5]
	v_cmp_ne_u32_e64 s0, 0, v15
	v_lshrrev_b32_e32 v18, 8, v16
	v_and_b32_e32 v17, 7, v3
	v_lshrrev_b32_e32 v3, 2, v3
	v_and_or_b32 v0, 0x8000, v19, v0
	v_cndmask_b32_e64 v15, 0, 1, s0
	v_sub_nc_u32_e32 v19, 0x3f1, v21
	v_cmp_lt_i32_e64 s0, 5, v17
	v_cmp_eq_u32_e64 s1, 3, v17
	v_add_nc_u32_e32 v21, 0xfffffc10, v21
	v_and_or_b32 v15, 0xffe, v18, v15
	v_mul_f16_sdwa v18, v130, v20 dst_sel:DWORD dst_unused:UNUSED_PAD src0_sel:WORD_1 src1_sel:DWORD
	v_med3_i32 v19, v19, 0, 13
	s_or_b32 s0, s1, s0
	v_and_b32_e32 v0, 0xffff, v0
	v_add_co_ci_u32_e64 v3, s0, 0, v3, s0
	v_fmac_f16_e32 v18, v130, v5
	v_cmp_ne_u32_e64 s0, 0, v6
	v_or_b32_e32 v22, 0x1000, v15
	v_mul_f16_sdwa v5, v130, v5 dst_sel:DWORD dst_unused:UNUSED_PAD src0_sel:WORD_1 src1_sel:DWORD
	v_and_or_b32 v11, 0x1ff, v12, v11
	v_cvt_f32_f16_e32 v17, v18
	v_cndmask_b32_e64 v6, 0, 1, s0
	v_lshrrev_b32_e32 v23, v19, v22
	v_lshrrev_b32_e32 v24, 8, v12
	v_cmp_ne_u32_e64 s0, 0, v11
	v_cvt_f64_f32_e32 v[17:18], v17
	v_bfe_u32 v25, v12, 20, 11
	v_lshlrev_b32_e32 v19, v19, v23
	v_lshl_or_b32 v6, v6, 9, 0x7c00
	v_cndmask_b32_e64 v11, 0, 1, s0
	v_cmp_gt_i32_e64 s0, 31, v13
	v_fma_f16 v5, v130, v20, -v5
	v_lshrrev_b32_e32 v16, 16, v16
	v_and_or_b32 v11, 0xffe, v24, v11
	v_sub_nc_u32_e32 v24, 0x3f1, v25
	v_cndmask_b32_e64 v3, 0x7c00, v3, s0
	v_cmp_ne_u32_e64 s0, v19, v22
	v_cvt_f32_f16_e32 v5, v5
	v_or_b32_e32 v22, 0x1000, v11
	v_med3_i32 v24, v24, 0, 13
	v_cndmask_b32_e64 v19, 0, 1, s0
	v_cmp_eq_u32_e64 s0, 0x40f, v13
	v_lshrrev_b32_e32 v26, v24, v22
	v_or_b32_e32 v19, v23, v19
	v_cndmask_b32_e64 v3, v3, v6, s0
	v_lshl_or_b32 v23, v21, 12, v15
	v_cmp_gt_i32_e64 s0, 1, v21
	v_lshrrev_b32_e32 v6, 16, v14
	v_mul_f64 v[13:14], v[17:18], s[4:5]
	v_lshlrev_b32_e32 v18, v24, v26
	v_cndmask_b32_e64 v17, v23, v19, s0
	v_and_or_b32 v3, 0x8000, v6, v3
	v_cmp_ne_u32_e64 s0, v18, v22
	v_add_nc_u32_e32 v18, 0xfffffc10, v25
	v_and_b32_e32 v19, 7, v17
	v_lshrrev_b32_e32 v17, 2, v17
	v_lshl_or_b32 v0, v3, 16, v0
	v_cndmask_b32_e64 v6, 0, 1, s0
	v_lshl_or_b32 v20, v18, 12, v11
	v_cmp_lt_i32_e64 s0, 5, v19
	v_cmp_eq_u32_e64 s1, 3, v19
	v_cmp_gt_i32_e64 s2, 1, v18
	v_or_b32_e32 v3, v26, v6
	v_cvt_f64_f32_e32 v[5:6], v5
	s_or_b32 s0, s1, s0
	v_add_co_ci_u32_e64 v17, s0, 0, v17, s0
	v_and_or_b32 v13, 0x1ff, v14, v13
	v_cmp_ne_u32_e64 s0, 0, v15
	v_cndmask_b32_e64 v3, v20, v3, s2
	v_lshrrev_b32_e32 v20, 8, v14
	v_bfe_u32 v22, v14, 20, 11
	v_cmp_eq_u32_e64 s2, 0x40f, v21
	v_cndmask_b32_e64 v15, 0, 1, s0
	v_cmp_ne_u32_e64 s0, 0, v13
	v_and_b32_e32 v19, 7, v3
	v_lshrrev_b32_e32 v3, 2, v3
	v_lshrrev_b32_e32 v14, 16, v14
	v_lshl_or_b32 v15, v15, 9, 0x7c00
	v_cndmask_b32_e64 v13, 0, 1, s0
	v_cmp_gt_i32_e64 s0, 31, v21
	v_cmp_eq_u32_e64 s1, 3, v19
	v_mul_f64 v[5:6], v[5:6], s[4:5]
	v_and_or_b32 v13, 0xffe, v20, v13
	v_sub_nc_u32_e32 v20, 0x3f1, v22
	v_cndmask_b32_e64 v17, 0x7c00, v17, s0
	v_cmp_lt_i32_e64 s0, 5, v19
	v_or_b32_e32 v19, 0x1000, v13
	v_med3_i32 v20, v20, 0, 13
	v_cndmask_b32_e64 v15, v17, v15, s2
	s_or_b32 s0, s1, s0
	v_add_co_ci_u32_e64 v3, s0, 0, v3, s0
	v_lshrrev_b32_e32 v17, v20, v19
	v_cmp_ne_u32_e64 s0, 0, v11
	v_and_or_b32 v15, 0x8000, v16, v15
	v_lshlrev_b32_e32 v20, v20, v17
	v_cndmask_b32_e64 v11, 0, 1, s0
	v_cmp_gt_i32_e64 s0, 31, v18
	v_and_b32_e32 v15, 0xffff, v15
	v_and_or_b32 v5, 0x1ff, v6, v5
	v_bfe_u32 v21, v6, 20, 11
	v_lshl_or_b32 v11, v11, 9, 0x7c00
	v_cndmask_b32_e64 v3, 0x7c00, v3, s0
	v_cmp_ne_u32_e64 s0, v20, v19
	v_add_nc_u32_e32 v19, 0xfffffc10, v22
	v_lshrrev_b32_e32 v20, 16, v2
	v_cndmask_b32_e64 v16, 0, 1, s0
	v_cmp_eq_u32_e64 s0, 0x40f, v18
	v_lshrrev_b32_e32 v18, 8, v6
	v_lshrrev_b32_e32 v6, 16, v6
	v_cndmask_b32_e64 v3, v3, v11, s0
	v_cmp_ne_u32_e64 s0, 0, v5
	v_or_b32_e32 v11, v17, v16
	v_lshl_or_b32 v16, v19, 12, v13
	v_mul_f16_sdwa v17, v129, v20 dst_sel:DWORD dst_unused:UNUSED_PAD src0_sel:WORD_1 src1_sel:DWORD
	v_cndmask_b32_e64 v5, 0, 1, s0
	v_cmp_gt_i32_e64 s0, 1, v19
	v_fmac_f16_e32 v17, v129, v2
	v_mul_f16_sdwa v2, v129, v2 dst_sel:DWORD dst_unused:UNUSED_PAD src0_sel:WORD_1 src1_sel:DWORD
	v_and_or_b32 v5, 0xffe, v18, v5
	v_cndmask_b32_e64 v16, v16, v11, s0
	v_sub_nc_u32_e32 v11, 0x3f1, v21
	v_lshrrev_b32_e32 v18, 16, v12
	v_cvt_f32_f16_e32 v17, v17
	v_or_b32_e32 v23, 0x1000, v5
	v_and_b32_e32 v22, 7, v16
	v_med3_i32 v24, v11, 0, 13
	v_add_co_u32 v9, s0, v9, s6
	v_and_or_b32 v3, 0x8000, v18, v3
	v_cvt_f64_f32_e32 v[11:12], v17
	v_lshrrev_b32_e32 v17, v24, v23
	v_add_co_ci_u32_e64 v10, s0, s7, v10, s0
	v_cmp_lt_i32_e64 s0, 5, v22
	v_cmp_eq_u32_e64 s1, 3, v22
	v_lshl_or_b32 v18, v3, 16, v15
	v_lshrrev_b32_e32 v3, 2, v16
	v_lshlrev_b32_e32 v15, v24, v17
	v_fma_f16 v2, v129, v20, -v2
	s_or_b32 s0, s1, s0
	v_add_nc_u32_e32 v20, 0xfffffc10, v21
	v_add_co_ci_u32_e64 v16, s0, 0, v3, s0
	v_cmp_ne_u32_e64 s0, v15, v23
	v_cvt_f32_f16_e32 v15, v2
	v_cndmask_b32_e64 v3, 0, 1, s0
	v_cmp_ne_u32_e64 s0, 0, v13
	v_or_b32_e32 v17, v17, v3
	v_cndmask_b32_e64 v13, 0, 1, s0
	v_cmp_gt_i32_e64 s0, 31, v19
	v_mul_f64 v[2:3], v[11:12], s[4:5]
	v_cvt_f64_f32_e32 v[11:12], v15
	v_lshl_or_b32 v15, v20, 12, v5
	v_lshl_or_b32 v13, v13, 9, 0x7c00
	v_cndmask_b32_e64 v21, 0x7c00, v16, s0
	v_cmp_gt_i32_e64 s0, 1, v20
	v_cndmask_b32_e64 v17, v15, v17, s0
	v_add_co_u32 v15, s0, v9, s6
	v_add_co_ci_u32_e64 v16, s0, s7, v10, s0
	v_cmp_eq_u32_e64 s0, 0x40f, v19
	v_and_b32_e32 v22, 7, v17
	global_store_dword v[9:10], v0, off
	global_store_dword v[15:16], v18, off
	v_cndmask_b32_e64 v13, v21, v13, s0
	v_cmp_lt_i32_e64 s0, 5, v22
	v_cmp_eq_u32_e64 s1, 3, v22
	v_mul_f64 v[9:10], v[11:12], s[4:5]
	v_and_or_b32 v2, 0x1ff, v3, v2
	v_and_or_b32 v0, 0x8000, v14, v13
	v_lshrrev_b32_e32 v13, 2, v17
	s_or_b32 s0, s1, s0
	v_lshrrev_b32_e32 v12, 8, v3
	v_lshrrev_b32_e32 v14, 16, v4
	v_and_b32_e32 v0, 0xffff, v0
	v_add_co_ci_u32_e64 v11, s0, 0, v13, s0
	v_cmp_ne_u32_e64 s0, 0, v5
	v_bfe_u32 v13, v3, 20, 11
	v_mul_f16_sdwa v17, v128, v14 dst_sel:DWORD dst_unused:UNUSED_PAD src0_sel:WORD_1 src1_sel:DWORD
	s_mul_i32 s1, s9, 0xffffe9e8
	v_cndmask_b32_e64 v5, 0, 1, s0
	v_cmp_ne_u32_e64 s0, 0, v2
	v_fmac_f16_e32 v17, v128, v4
	v_mul_f16_sdwa v4, v128, v4 dst_sel:DWORD dst_unused:UNUSED_PAD src0_sel:WORD_1 src1_sel:DWORD
	v_lshl_or_b32 v5, v5, 9, 0x7c00
	v_cndmask_b32_e64 v2, 0, 1, s0
	v_cmp_gt_i32_e64 s0, 31, v20
	v_and_or_b32 v9, 0x1ff, v10, v9
	v_cvt_f32_f16_e32 v17, v17
	v_bfe_u32 v19, v10, 20, 11
	v_and_or_b32 v2, 0xffe, v12, v2
	v_cndmask_b32_e64 v11, 0x7c00, v11, s0
	v_sub_nc_u32_e32 v12, 0x3f1, v13
	v_cmp_eq_u32_e64 s0, 0x40f, v20
	v_sub_nc_u32_e32 v20, 0x3f1, v19
	v_fma_f16 v4, v128, v14, -v4
	v_med3_i32 v12, v12, 0, 13
	v_cndmask_b32_e64 v5, v11, v5, s0
	v_or_b32_e32 v11, 0x1000, v2
	v_cmp_ne_u32_e64 s0, 0, v9
	v_lshrrev_b32_e32 v9, 8, v10
	v_lshrrev_b32_e32 v10, 16, v10
	v_and_or_b32 v5, 0x8000, v6, v5
	v_lshrrev_b32_e32 v18, v12, v11
	v_cndmask_b32_e64 v6, 0, 1, s0
	v_lshl_or_b32 v0, v5, 16, v0
	v_lshlrev_b32_e32 v12, v12, v18
	v_and_or_b32 v9, 0xffe, v9, v6
	v_cvt_f64_f32_e32 v[5:6], v17
	v_add_nc_u32_e32 v17, 0xfffffc10, v13
	v_med3_i32 v13, v20, 0, 13
	v_cmp_ne_u32_e64 s0, v12, v11
	v_or_b32_e32 v12, 0x1000, v9
	v_cndmask_b32_e64 v11, 0, 1, s0
	s_mul_hi_u32 s0, s8, 0xffffe9e8
	v_lshrrev_b32_e32 v20, v13, v12
	s_sub_i32 s3, s0, s8
	v_cmp_gt_i32_e64 s0, 1, v17
	v_or_b32_e32 v11, v18, v11
	v_lshl_or_b32 v18, v17, 12, v2
	s_add_i32 s3, s3, s1
	v_cndmask_b32_e64 v18, v18, v11, s0
	v_lshlrev_b32_e32 v11, v13, v20
	v_and_b32_e32 v13, 7, v18
	v_cmp_ne_u32_e64 s0, v11, v12
	v_cvt_f32_f16_e32 v11, v4
	v_mul_f64 v[4:5], v[5:6], s[4:5]
	v_add_nc_u32_e32 v6, 0xfffffc10, v19
	v_cmp_eq_u32_e64 s1, 3, v13
	v_cndmask_b32_e64 v14, 0, 1, s0
	v_cvt_f64_f32_e32 v[11:12], v11
	v_cmp_lt_i32_e64 s0, 5, v13
	v_add_co_u32 v13, s2, v15, s10
	v_lshrrev_b32_e32 v15, 2, v18
	v_or_b32_e32 v19, v20, v14
	v_add_co_ci_u32_e64 v14, s2, s3, v16, s2
	s_or_b32 s0, s1, s0
	v_lshl_or_b32 v20, v6, 12, v9
	v_cmp_gt_i32_e64 s2, 1, v6
	v_add_co_ci_u32_e64 v15, s0, 0, v15, s0
	v_cmp_ne_u32_e64 s0, 0, v2
	global_store_dword v[13:14], v0, off
	v_cndmask_b32_e64 v16, v20, v19, s2
	v_lshrrev_b32_e32 v20, 16, v1
	v_and_or_b32 v4, 0x1ff, v5, v4
	v_cndmask_b32_e64 v2, 0, 1, s0
	v_cmp_gt_i32_e64 s0, 31, v17
	v_and_b32_e32 v18, 7, v16
	v_mul_f64 v[11:12], v[11:12], s[4:5]
	v_cmp_ne_u32_e64 s2, 0, v4
	v_lshl_or_b32 v2, v2, 9, 0x7c00
	v_cndmask_b32_e64 v15, 0x7c00, v15, s0
	v_cmp_lt_i32_e64 s0, 5, v18
	v_cmp_eq_u32_e64 s1, 3, v18
	v_cndmask_b32_e64 v4, 0, 1, s2
	v_cmp_eq_u32_e64 s2, 0x40f, v17
	v_lshrrev_b32_e32 v18, 8, v5
	v_bfe_u32 v19, v5, 20, 11
	s_or_b32 s0, s1, s0
	v_cndmask_b32_e64 v15, v15, v2, s2
	v_lshrrev_b32_e32 v2, 2, v16
	v_and_or_b32 v16, 0xffe, v18, v4
	v_sub_nc_u32_e32 v4, 0x3f1, v19
	v_lshrrev_b32_e32 v18, 16, v3
	v_add_co_ci_u32_e64 v2, s0, 0, v2, s0
	v_cmp_ne_u32_e64 s0, 0, v9
	v_or_b32_e32 v17, 0x1000, v16
	v_med3_i32 v4, v4, 0, 13
	v_and_or_b32 v11, 0x1ff, v12, v11
	v_bfe_u32 v21, v12, 20, 11
	v_cndmask_b32_e64 v9, 0, 1, s0
	v_cmp_gt_i32_e64 s0, 31, v6
	v_and_or_b32 v0, 0x8000, v18, v15
	v_lshl_or_b32 v3, v9, 9, 0x7c00
	v_cndmask_b32_e64 v2, 0x7c00, v2, s0
	v_lshrrev_b32_e32 v9, v4, v17
	v_cmp_eq_u32_e64 s0, 0x40f, v6
	v_cndmask_b32_e64 v6, v2, v3, s0
	v_lshlrev_b32_e32 v2, v4, v9
	v_mul_f16_sdwa v3, v127, v20 dst_sel:DWORD dst_unused:UNUSED_PAD src0_sel:WORD_1 src1_sel:DWORD
	v_cmp_ne_u32_e64 s0, 0, v11
	v_lshrrev_b32_e32 v11, 8, v12
	v_and_or_b32 v6, 0x8000, v10, v6
	v_fmac_f16_e32 v3, v127, v1
	v_cndmask_b32_e64 v4, 0, 1, s0
	v_cmp_ne_u32_e64 s0, v2, v17
	v_add_nc_u32_e32 v17, 0xfffffc10, v19
	v_mul_f16_sdwa v1, v127, v1 dst_sel:DWORD dst_unused:UNUSED_PAD src0_sel:WORD_1 src1_sel:DWORD
	v_cvt_f32_f16_e32 v3, v3
	v_and_or_b32 v11, 0xffe, v11, v4
	v_cndmask_b32_e64 v2, 0, 1, s0
	v_sub_nc_u32_e32 v4, 0x3f1, v21
	v_lshl_or_b32 v19, v17, 12, v16
	v_cmp_gt_i32_e64 s0, 1, v17
	v_or_b32_e32 v22, 0x1000, v11
	v_or_b32_e32 v9, v9, v2
	v_cvt_f64_f32_e32 v[2:3], v3
	v_med3_i32 v4, v4, 0, 13
	v_fma_f16 v1, v127, v20, -v1
	v_cndmask_b32_e64 v9, v19, v9, s0
	v_and_b32_e32 v19, 0xffff, v0
	v_lshrrev_b32_e32 v15, v4, v22
	v_cvt_f32_f16_e32 v1, v1
	v_and_b32_e32 v18, 7, v9
	v_lshlrev_b32_e32 v0, v4, v15
	v_lshrrev_b32_e32 v4, 2, v9
	v_cvt_f64_f32_e32 v[9:10], v1
	v_cmp_lt_i32_e64 s0, 5, v18
	v_cmp_eq_u32_e64 s1, 3, v18
	v_cmp_ne_u32_e64 s2, v0, v22
	v_add_nc_u32_e32 v18, 0xfffffc10, v21
	s_or_b32 s0, s1, s0
	v_cndmask_b32_e64 v0, 0, 1, s2
	v_add_co_ci_u32_e64 v20, s0, 0, v4, s0
	v_mul_f64 v[3:4], v[2:3], s[4:5]
	v_cmp_ne_u32_e64 s0, 0, v16
	v_or_b32_e32 v2, v15, v0
	v_lshl_or_b32 v15, v18, 12, v11
	ds_read2_b32 v[0:1], v102 offset0:112 offset1:168
	v_cndmask_b32_e64 v16, 0, 1, s0
	v_cmp_gt_i32_e64 s0, 1, v18
	v_lshl_or_b32 v16, v16, 9, 0x7c00
	v_cndmask_b32_e64 v2, v15, v2, s0
	v_cmp_gt_i32_e64 s0, 31, v17
	v_lshl_or_b32 v15, v6, 16, v19
	v_and_b32_e32 v19, 7, v2
	v_cndmask_b32_e64 v6, 0x7c00, v20, s0
	v_add_co_u32 v13, s0, v13, s6
	v_add_co_ci_u32_e64 v14, s0, s7, v14, s0
	v_cmp_eq_u32_e64 s0, 0x40f, v17
	v_and_or_b32 v3, 0x1ff, v4, v3
	v_lshrrev_b32_e32 v17, 16, v5
	v_cmp_eq_u32_e64 s1, 3, v19
	v_lshrrev_b32_e32 v2, 2, v2
	v_cndmask_b32_e64 v16, v6, v16, s0
	v_mul_f64 v[5:6], v[9:10], s[4:5]
	v_cmp_ne_u32_e64 s2, 0, v3
	v_cmp_lt_i32_e64 s0, 5, v19
	s_waitcnt lgkmcnt(0)
	v_lshrrev_b32_e32 v19, 16, v0
	v_lshrrev_b32_e32 v9, 8, v4
	v_bfe_u32 v10, v4, 20, 11
	v_cndmask_b32_e64 v3, 0, 1, s2
	s_or_b32 s0, s1, s0
	v_mul_f16_sdwa v20, v126, v19 dst_sel:DWORD dst_unused:UNUSED_PAD src0_sel:WORD_1 src1_sel:DWORD
	v_add_co_ci_u32_e64 v2, s0, 0, v2, s0
	v_and_or_b32 v21, 0xffe, v9, v3
	v_sub_nc_u32_e32 v3, 0x3f1, v10
	v_cmp_ne_u32_e64 s0, 0, v11
	v_fmac_f16_e32 v20, v126, v0
	v_and_or_b32 v16, 0x8000, v17, v16
	v_or_b32_e32 v11, 0x1000, v21
	v_med3_i32 v22, v3, 0, 13
	v_cndmask_b32_e64 v9, 0, 1, s0
	v_cmp_gt_i32_e64 s0, 31, v18
	v_cvt_f32_f16_e32 v3, v20
	v_mul_f16_sdwa v0, v126, v0 dst_sel:DWORD dst_unused:UNUSED_PAD src0_sel:WORD_1 src1_sel:DWORD
	v_lshrrev_b32_e32 v23, v22, v11
	v_lshl_or_b32 v9, v9, 9, 0x7c00
	v_cndmask_b32_e64 v20, 0x7c00, v2, s0
	v_and_or_b32 v5, 0x1ff, v6, v5
	v_cmp_eq_u32_e64 s0, 0x40f, v18
	v_cvt_f64_f32_e32 v[2:3], v3
	v_lshlrev_b32_e32 v17, v22, v23
	v_lshrrev_b32_e32 v18, 8, v6
	v_fma_f16 v0, v126, v19, -v0
	v_cndmask_b32_e64 v9, v20, v9, s0
	v_cmp_ne_u32_e64 s0, 0, v5
	v_bfe_u32 v20, v6, 20, 11
	global_store_dword v[13:14], v15, off
	v_cvt_f32_f16_e32 v0, v0
	v_lshrrev_b32_e32 v6, 16, v6
	v_cndmask_b32_e64 v5, 0, 1, s0
	v_cmp_ne_u32_e64 s0, v17, v11
	v_add_nc_u32_e32 v17, 0xfffffc10, v10
	v_lshrrev_b32_e32 v10, 16, v12
	v_sub_nc_u32_e32 v12, 0x3f1, v20
	v_and_or_b32 v5, 0xffe, v18, v5
	v_cndmask_b32_e64 v11, 0, 1, s0
	v_lshl_or_b32 v18, v17, 12, v21
	v_cmp_gt_i32_e64 s0, 1, v17
	v_med3_i32 v12, v12, 0, 13
	v_and_or_b32 v22, 0x8000, v10, v9
	v_or_b32_e32 v11, v23, v11
	v_or_b32_e32 v23, 0x1000, v5
	v_mul_f64 v[9:10], v[2:3], s[4:5]
	v_and_b32_e32 v2, 0xffff, v16
	v_add_nc_u32_e32 v15, 0xfffffc10, v20
	v_cndmask_b32_e64 v11, v18, v11, s0
	v_lshrrev_b32_e32 v16, v12, v23
	v_lshl_or_b32 v22, v22, 16, v2
	v_and_b32_e32 v3, 7, v11
	v_lshlrev_b32_e32 v2, v12, v16
	v_lshrrev_b32_e32 v11, 2, v11
	v_cmp_lt_i32_e64 s0, 5, v3
	v_cmp_eq_u32_e64 s1, 3, v3
	v_cmp_ne_u32_e64 s2, v2, v23
	v_cvt_f64_f32_e32 v[2:3], v0
	s_or_b32 s0, s1, s0
	v_cndmask_b32_e64 v12, 0, 1, s2
	v_add_co_ci_u32_e64 v0, s0, 0, v11, s0
	v_cmp_ne_u32_e64 s0, 0, v21
	v_and_or_b32 v9, 0x1ff, v10, v9
	v_or_b32_e32 v11, v16, v12
	v_lshl_or_b32 v12, v15, 12, v5
	v_bfe_u32 v19, v10, 20, 11
	v_cndmask_b32_e64 v16, 0, 1, s0
	v_cmp_gt_i32_e64 s0, 1, v15
	v_cmp_eq_u32_e64 s2, 0x40f, v17
	v_sub_nc_u32_e32 v21, 0x3f1, v19
	v_lshl_or_b32 v16, v16, 9, 0x7c00
	v_cndmask_b32_e64 v18, v12, v11, s0
	v_cmp_ne_u32_e64 s0, 0, v9
	v_lshrrev_b32_e32 v11, 8, v10
	v_med3_i32 v21, v21, 0, 13
	v_add_nc_u32_e32 v19, 0xfffffc10, v19
	v_and_b32_e32 v20, 7, v18
	v_cndmask_b32_e64 v9, 0, 1, s0
	v_cmp_gt_i32_e64 s0, 31, v17
	v_lshrrev_b32_e32 v18, 2, v18
	v_cmp_eq_u32_e64 s1, 3, v20
	v_and_or_b32 v9, 0xffe, v11, v9
	v_cndmask_b32_e64 v0, 0x7c00, v0, s0
	v_cmp_lt_i32_e64 s0, 5, v20
	v_mul_f64 v[11:12], v[2:3], s[4:5]
	ds_read2_b32 v[2:3], v73 offset0:90 offset1:146
	v_or_b32_e32 v23, 0x1000, v9
	v_cndmask_b32_e64 v0, v0, v16, s2
	s_or_b32 s0, s1, s0
	v_lshrrev_b32_e32 v20, 16, v4
	v_add_co_ci_u32_e64 v17, s0, 0, v18, s0
	v_lshrrev_b32_e32 v16, v21, v23
	v_cmp_ne_u32_e64 s0, 0, v5
	v_and_or_b32 v0, 0x8000, v20, v0
	v_lshlrev_b32_e32 v18, v21, v16
	v_cndmask_b32_e64 v5, 0, 1, s0
	v_cmp_gt_i32_e64 s0, 31, v15
	v_and_b32_e32 v0, 0xffff, v0
	v_lshl_or_b32 v5, v5, 9, 0x7c00
	v_cndmask_b32_e64 v4, 0x7c00, v17, s0
	v_cmp_ne_u32_e64 s0, v18, v23
	v_and_or_b32 v11, 0x1ff, v12, v11
	s_waitcnt lgkmcnt(0)
	v_lshrrev_b32_e32 v18, 16, v2
	v_bfe_u32 v21, v12, 20, 11
	v_cndmask_b32_e64 v17, 0, 1, s0
	v_cmp_eq_u32_e64 s0, 0x40f, v15
	v_cndmask_b32_e64 v15, v4, v5, s0
	v_or_b32_e32 v4, v16, v17
	v_mul_f16_sdwa v16, v125, v18 dst_sel:DWORD dst_unused:UNUSED_PAD src0_sel:WORD_1 src1_sel:DWORD
	v_cmp_ne_u32_e64 s0, 0, v11
	v_lshl_or_b32 v5, v19, 12, v9
	v_lshrrev_b32_e32 v17, 8, v12
	v_and_or_b32 v6, 0x8000, v6, v15
	v_fmac_f16_e32 v16, v125, v2
	v_cndmask_b32_e64 v11, 0, 1, s0
	v_cmp_gt_i32_e64 s0, 1, v19
	v_mul_f16_sdwa v2, v125, v2 dst_sel:DWORD dst_unused:UNUSED_PAD src0_sel:WORD_1 src1_sel:DWORD
	v_lshl_or_b32 v0, v6, 16, v0
	v_lshrrev_b32_e32 v12, 16, v12
	v_and_or_b32 v11, 0xffe, v17, v11
	v_cndmask_b32_e64 v23, v5, v4, s0
	v_sub_nc_u32_e32 v4, 0x3f1, v21
	v_cvt_f32_f16_e32 v5, v16
	v_add_co_u32 v13, s0, v13, s6
	v_or_b32_e32 v17, 0x1000, v11
	v_med3_i32 v24, v4, 0, 13
	v_cvt_f64_f32_e32 v[4:5], v5
	v_and_b32_e32 v16, 7, v23
	v_add_co_ci_u32_e64 v14, s0, s7, v14, s0
	v_lshrrev_b32_e32 v20, v24, v17
	v_lshrrev_b32_e32 v15, 2, v23
	v_cmp_lt_i32_e64 s0, 5, v16
	v_cmp_eq_u32_e64 s1, 3, v16
	v_fma_f16 v2, v125, v18, -v2
	v_lshlrev_b32_e32 v16, v24, v20
	v_add_nc_u32_e32 v21, 0xfffffc10, v21
	s_or_b32 s0, s1, s0
	v_cvt_f32_f16_e32 v2, v2
	v_add_co_ci_u32_e64 v23, s0, 0, v15, s0
	v_cmp_ne_u32_e64 s0, v16, v17
	v_cvt_f64_f32_e32 v[17:18], v2
	v_cndmask_b32_e64 v24, 0, 1, s0
	v_mul_f64 v[15:16], v[4:5], s[4:5]
	v_cmp_ne_u32_e64 s0, 0, v9
	v_lshl_or_b32 v5, v21, 12, v11
	v_or_b32_e32 v2, v20, v24
	v_cndmask_b32_e64 v4, 0, 1, s0
	v_cmp_gt_i32_e64 s0, 31, v19
	v_lshl_or_b32 v4, v4, 9, 0x7c00
	v_cndmask_b32_e64 v9, 0x7c00, v23, s0
	v_cmp_gt_i32_e64 s0, 1, v21
	v_cndmask_b32_e64 v2, v5, v2, s0
	v_cmp_eq_u32_e64 s0, 0x40f, v19
	ds_read2_b32 v[5:6], v71 offset0:68 offset1:124
	v_mul_f64 v[17:18], v[17:18], s[4:5]
	v_and_or_b32 v15, 0x1ff, v16, v15
	v_and_b32_e32 v20, 7, v2
	v_cndmask_b32_e64 v4, v9, v4, s0
	v_add_co_u32 v9, s0, v13, s6
	v_lshrrev_b32_e32 v19, 16, v10
	v_cmp_ne_u32_e64 s2, 0, v15
	v_add_co_ci_u32_e64 v10, s0, s7, v14, s0
	v_cmp_lt_i32_e64 s0, 5, v20
	v_cmp_eq_u32_e64 s1, 3, v20
	v_lshrrev_b32_e32 v2, 2, v2
	v_and_or_b32 v4, 0x8000, v19, v4
	v_cndmask_b32_e64 v15, 0, 1, s2
	v_lshrrev_b32_e32 v19, 8, v16
	v_bfe_u32 v23, v16, 20, 11
	s_or_b32 s0, s1, s0
	v_and_b32_e32 v4, 0xffff, v4
	v_add_co_ci_u32_e64 v2, s0, 0, v2, s0
	v_and_or_b32 v15, 0xffe, v19, v15
	v_sub_nc_u32_e32 v19, 0x3f1, v23
	v_cmp_ne_u32_e64 s0, 0, v11
	s_waitcnt lgkmcnt(0)
	v_lshrrev_b32_e32 v24, 16, v5
	v_and_or_b32 v17, 0x1ff, v18, v17
	v_or_b32_e32 v25, 0x1000, v15
	v_med3_i32 v19, v19, 0, 13
	v_cndmask_b32_e64 v11, 0, 1, s0
	v_cmp_gt_i32_e64 s0, 31, v21
	v_mul_f16_sdwa v20, v124, v24 dst_sel:DWORD dst_unused:UNUSED_PAD src0_sel:WORD_1 src1_sel:DWORD
	v_lshrrev_b32_e32 v27, 8, v18
	v_lshrrev_b32_e32 v26, v19, v25
	v_lshl_or_b32 v11, v11, 9, 0x7c00
	v_cndmask_b32_e64 v2, 0x7c00, v2, s0
	v_cmp_eq_u32_e64 s0, 0x40f, v21
	v_fmac_f16_e32 v20, v124, v5
	v_lshlrev_b32_e32 v21, v19, v26
	v_bfe_u32 v28, v18, 20, 11
	global_store_dword v[13:14], v22, off
	global_store_dword v[9:10], v0, off
	v_cndmask_b32_e64 v2, v2, v11, s0
	v_cmp_ne_u32_e64 s0, 0, v17
	v_cvt_f32_f16_e32 v11, v20
	v_mul_f16_sdwa v5, v124, v5 dst_sel:DWORD dst_unused:UNUSED_PAD src0_sel:WORD_1 src1_sel:DWORD
	v_lshrrev_b32_e32 v16, 16, v16
	v_and_or_b32 v2, 0x8000, v12, v2
	v_cndmask_b32_e64 v17, 0, 1, s0
	v_cmp_ne_u32_e64 s0, v21, v25
	v_cvt_f64_f32_e32 v[19:20], v11
	v_add_nc_u32_e32 v21, 0xfffffc10, v23
	v_sub_nc_u32_e32 v23, 0x3f1, v28
	v_and_or_b32 v17, 0xffe, v27, v17
	v_cndmask_b32_e64 v11, 0, 1, s0
	v_lshl_or_b32 v0, v2, 16, v4
	v_lshl_or_b32 v25, v21, 12, v15
	v_med3_i32 v23, v23, 0, 13
	v_cmp_gt_i32_e64 s0, 1, v21
	v_or_b32_e32 v11, v26, v11
	v_or_b32_e32 v26, 0x1000, v17
	v_fma_f16 v5, v124, v24, -v5
	v_lshrrev_b32_e32 v18, 16, v18
	v_cndmask_b32_e64 v25, v25, v11, s0
	v_lshrrev_b32_e32 v27, v23, v26
	v_add_co_u32 v9, s0, v9, s10
	v_add_co_ci_u32_e64 v10, s0, s3, v10, s0
	v_lshlrev_b32_e32 v4, v23, v27
	v_and_b32_e32 v2, 7, v25
	v_mul_f64 v[11:12], v[19:20], s[4:5]
	v_cvt_f32_f16_e32 v5, v5
	v_add_nc_u32_e32 v19, 0xfffffc10, v28
	v_cmp_ne_u32_e64 s1, v4, v26
	v_cmp_lt_i32_e64 s0, 5, v2
	global_store_dword v[9:10], v0, off
	v_cvt_f64_f32_e32 v[13:14], v5
	v_lshl_or_b32 v20, v19, 12, v17
	v_cndmask_b32_e64 v4, 0, 1, s1
	v_cmp_eq_u32_e64 s1, 3, v2
	v_lshrrev_b32_e32 v2, 2, v25
	v_or_b32_e32 v4, v27, v4
	s_or_b32 s0, s1, s0
	v_add_co_ci_u32_e64 v2, s0, 0, v2, s0
	v_cmp_ne_u32_e64 s0, 0, v15
	v_and_or_b32 v11, 0x1ff, v12, v11
	v_cndmask_b32_e64 v5, 0, 1, s0
	v_cmp_gt_i32_e64 s0, 1, v19
	v_lshrrev_b32_e32 v23, 8, v12
	v_bfe_u32 v24, v12, 20, 11
	v_lshrrev_b32_e32 v12, 16, v12
	v_mul_f64 v[13:14], v[13:14], s[4:5]
	v_cndmask_b32_e64 v15, v20, v4, s0
	v_cmp_gt_i32_e64 s0, 31, v21
	v_lshl_or_b32 v20, v5, 9, 0x7c00
	ds_read2_b32 v[4:5], v70 offset0:46 offset1:102
	v_and_b32_e32 v22, 7, v15
	v_cndmask_b32_e64 v2, 0x7c00, v2, s0
	v_cmp_ne_u32_e64 s0, 0, v11
	v_lshrrev_b32_e32 v15, 2, v15
	v_cmp_eq_u32_e64 s1, 3, v22
	v_cndmask_b32_e64 v11, 0, 1, s0
	v_cmp_eq_u32_e64 s0, 0x40f, v21
	v_and_or_b32 v11, 0xffe, v23, v11
	v_cndmask_b32_e64 v2, v2, v20, s0
	v_cmp_lt_i32_e64 s0, 5, v22
	v_sub_nc_u32_e32 v20, 0x3f1, v24
	v_and_or_b32 v13, 0x1ff, v14, v13
	v_or_b32_e32 v21, 0x1000, v11
	s_waitcnt lgkmcnt(0)
	v_lshrrev_b32_e32 v22, 16, v4
	s_or_b32 s0, s1, s0
	v_med3_i32 v20, v20, 0, 13
	v_add_co_ci_u32_e64 v15, s0, 0, v15, s0
	v_cmp_ne_u32_e64 s0, 0, v17
	v_mul_f16_sdwa v25, v123, v22 dst_sel:DWORD dst_unused:UNUSED_PAD src0_sel:WORD_1 src1_sel:DWORD
	v_lshrrev_b32_e32 v23, v20, v21
	v_and_or_b32 v2, 0x8000, v16, v2
	v_cndmask_b32_e64 v17, 0, 1, s0
	v_cmp_gt_i32_e64 s0, 31, v19
	v_lshlrev_b32_e32 v16, v20, v23
	v_fmac_f16_e32 v25, v123, v4
	v_add_nc_u32_e32 v20, 0xfffffc10, v24
	v_lshl_or_b32 v17, v17, 9, 0x7c00
	v_cndmask_b32_e64 v15, 0x7c00, v15, s0
	v_cmp_eq_u32_e64 s0, 0x40f, v19
	v_bfe_u32 v24, v14, 20, 11
	v_and_b32_e32 v2, 0xffff, v2
	v_mul_f16_sdwa v4, v123, v4 dst_sel:DWORD dst_unused:UNUSED_PAD src0_sel:WORD_1 src1_sel:DWORD
	v_cndmask_b32_e64 v17, v15, v17, s0
	v_cmp_ne_u32_e64 s0, v16, v21
	v_cvt_f32_f16_e32 v15, v25
	v_lshrrev_b32_e32 v21, 8, v14
	v_fma_f16 v4, v123, v22, -v4
	v_and_or_b32 v17, 0x8000, v18, v17
	v_cndmask_b32_e64 v19, 0, 1, s0
	v_cmp_ne_u32_e64 s0, 0, v13
	v_cvt_f64_f32_e32 v[15:16], v15
	v_cvt_f32_f16_e32 v4, v4
	v_lshl_or_b32 v0, v17, 16, v2
	v_or_b32_e32 v18, v23, v19
	v_cndmask_b32_e64 v13, 0, 1, s0
	v_lshl_or_b32 v19, v20, 12, v11
	v_cmp_gt_i32_e64 s0, 1, v20
	v_lshrrev_b32_e32 v14, 16, v14
	v_and_or_b32 v13, 0xffe, v21, v13
	v_sub_nc_u32_e32 v21, 0x3f1, v24
	v_cndmask_b32_e64 v18, v19, v18, s0
	v_add_co_u32 v9, s0, v9, s6
	v_or_b32_e32 v19, 0x1000, v13
	v_med3_i32 v21, v21, 0, 13
	v_and_b32_e32 v2, 7, v18
	v_add_co_ci_u32_e64 v10, s0, s7, v10, s0
	v_lshrrev_b32_e32 v23, v21, v19
	v_cmp_lt_i32_e64 s0, 5, v2
	v_cmp_eq_u32_e64 s1, 3, v2
	v_mul_f64 v[15:16], v[15:16], s[4:5]
	v_lshrrev_b32_e32 v2, 2, v18
	v_lshlrev_b32_e32 v17, v21, v23
	global_store_dword v[9:10], v0, off
	s_or_b32 s0, s1, s0
	v_add_co_ci_u32_e64 v2, s0, 0, v2, s0
	v_cmp_ne_u32_e64 s2, v17, v19
	v_cmp_ne_u32_e64 s0, 0, v11
	v_cvt_f64_f32_e32 v[17:18], v4
	v_add_nc_u32_e32 v4, 0xfffffc10, v24
	v_cndmask_b32_e64 v19, 0, 1, s2
	v_cndmask_b32_e64 v11, 0, 1, s0
	v_cmp_gt_i32_e64 s0, 31, v20
	v_lshl_or_b32 v21, v4, 12, v13
	v_or_b32_e32 v19, v23, v19
	v_lshl_or_b32 v11, v11, 9, 0x7c00
	v_cndmask_b32_e64 v2, 0x7c00, v2, s0
	v_cmp_gt_i32_e64 s0, 1, v4
	v_and_or_b32 v15, 0x1ff, v16, v15
	v_cndmask_b32_e64 v19, v21, v19, s0
	v_cmp_eq_u32_e64 s0, 0x40f, v20
	v_bfe_u32 v20, v16, 20, 11
	v_lshrrev_b32_e32 v21, 16, v1
	v_cndmask_b32_e64 v0, v2, v11, s0
	v_cmp_ne_u32_e64 s0, 0, v15
	v_lshrrev_b32_e32 v15, 8, v16
	v_and_b32_e32 v2, 7, v19
	v_mul_f64 v[17:18], v[17:18], s[4:5]
	v_mul_f16_sdwa v22, v122, v21 dst_sel:DWORD dst_unused:UNUSED_PAD src0_sel:WORD_1 src1_sel:DWORD
	v_cndmask_b32_e64 v11, 0, 1, s0
	v_and_or_b32 v24, 0x8000, v12, v0
	v_cmp_lt_i32_e64 s0, 5, v2
	v_cmp_eq_u32_e64 s1, 3, v2
	v_lshrrev_b32_e32 v2, 2, v19
	v_and_or_b32 v15, 0xffe, v15, v11
	v_sub_nc_u32_e32 v11, 0x3f1, v20
	v_fmac_f16_e32 v22, v122, v1
	s_or_b32 s0, s1, s0
	v_add_nc_u32_e32 v20, 0xfffffc10, v20
	v_or_b32_e32 v19, 0x1000, v15
	v_med3_i32 v11, v11, 0, 13
	v_add_co_ci_u32_e64 v2, s0, 0, v2, s0
	v_cmp_gt_i32_e64 s0, 31, v4
	v_cvt_f32_f16_e32 v0, v22
	v_lshrrev_b32_e32 v23, v11, v19
	v_lshrrev_b32_e32 v16, 16, v16
	v_cndmask_b32_e64 v2, 0x7c00, v2, s0
	v_cmp_ne_u32_e64 s0, 0, v13
	v_lshlrev_b32_e32 v22, v11, v23
	v_and_or_b32 v17, 0x1ff, v18, v17
	v_cvt_f64_f32_e32 v[11:12], v0
	v_cndmask_b32_e64 v0, 0, 1, s0
	v_cmp_ne_u32_e64 s0, v22, v19
	v_lshrrev_b32_e32 v19, 8, v18
	v_bfe_u32 v22, v18, 20, 11
	v_lshrrev_b32_e32 v18, 16, v18
	v_lshl_or_b32 v0, v0, 9, 0x7c00
	v_cndmask_b32_e64 v13, 0, 1, s0
	v_cmp_ne_u32_e64 s0, 0, v17
	v_or_b32_e32 v13, v23, v13
	v_cndmask_b32_e64 v17, 0, 1, s0
	v_cmp_eq_u32_e64 s0, 0x40f, v4
	v_lshl_or_b32 v23, v20, 12, v15
	v_and_or_b32 v17, 0xffe, v19, v17
	v_cndmask_b32_e64 v2, v2, v0, s0
	v_cmp_gt_i32_e64 s0, 1, v20
	v_sub_nc_u32_e32 v19, 0x3f1, v22
	v_or_b32_e32 v4, 0x1000, v17
	v_and_or_b32 v2, 0x8000, v14, v2
	v_cndmask_b32_e64 v13, v23, v13, s0
	v_med3_i32 v19, v19, 0, 13
	v_mul_f16_sdwa v23, v122, v1 dst_sel:DWORD dst_unused:UNUSED_PAD src0_sel:WORD_1 src1_sel:DWORD
	v_mul_f64 v[0:1], v[11:12], s[4:5]
	v_and_b32_e32 v11, 7, v13
	v_lshrrev_b32_e32 v25, v19, v4
	v_fma_f16 v12, v122, v21, -v23
	v_lshrrev_b32_e32 v13, 2, v13
	v_lshrrev_b32_e32 v23, 16, v3
	v_cmp_lt_i32_e64 s0, 5, v11
	v_cmp_eq_u32_e64 s1, 3, v11
	v_lshlrev_b32_e32 v14, v19, v25
	v_cvt_f32_f16_e32 v11, v12
	v_add_nc_u32_e32 v19, 0xfffffc10, v22
	v_and_b32_e32 v21, 0xffff, v24
	s_or_b32 s0, s1, s0
	v_cmp_ne_u32_e64 s2, v14, v4
	v_add_co_ci_u32_e64 v13, s0, 0, v13, s0
	v_cmp_ne_u32_e64 s0, 0, v15
	v_cvt_f64_f32_e32 v[11:12], v11
	v_cndmask_b32_e64 v4, 0, 1, s2
	v_lshl_or_b32 v15, v19, 12, v17
	v_lshl_or_b32 v21, v2, 16, v21
	v_cndmask_b32_e64 v14, 0, 1, s0
	v_cmp_gt_i32_e64 s0, 31, v20
	v_or_b32_e32 v4, v25, v4
	v_and_or_b32 v0, 0x1ff, v1, v0
	v_bfe_u32 v22, v1, 20, 11
	v_lshl_or_b32 v14, v14, 9, 0x7c00
	v_cndmask_b32_e64 v13, 0x7c00, v13, s0
	v_cmp_gt_i32_e64 s0, 1, v19
	v_cndmask_b32_e64 v4, v15, v4, s0
	v_cmp_ne_u32_e64 s0, 0, v0
	v_lshrrev_b32_e32 v15, 8, v1
	v_cndmask_b32_e64 v0, 0, 1, s0
	v_cmp_eq_u32_e64 s0, 0x40f, v20
	v_mul_f64 v[11:12], v[11:12], s[4:5]
	v_and_or_b32 v0, 0xffe, v15, v0
	v_cndmask_b32_e64 v13, v13, v14, s0
	v_and_b32_e32 v14, 7, v4
	v_sub_nc_u32_e32 v15, 0x3f1, v22
	v_lshrrev_b32_e32 v4, 2, v4
	v_or_b32_e32 v20, 0x1000, v0
	v_and_or_b32 v16, 0x8000, v16, v13
	v_cmp_lt_i32_e64 s0, 5, v14
	v_cmp_eq_u32_e64 s1, 3, v14
	v_med3_i32 v15, v15, 0, 13
	v_mul_f16_sdwa v13, v121, v23 dst_sel:DWORD dst_unused:UNUSED_PAD src0_sel:WORD_1 src1_sel:DWORD
	s_or_b32 s0, s1, s0
	v_lshrrev_b32_e32 v24, v15, v20
	v_add_co_ci_u32_e64 v4, s0, 0, v4, s0
	v_cmp_ne_u32_e64 s0, 0, v17
	v_fmac_f16_e32 v13, v121, v3
	v_lshlrev_b32_e32 v15, v15, v24
	v_and_or_b32 v11, 0x1ff, v12, v11
	v_bfe_u32 v25, v12, 20, 11
	v_cndmask_b32_e64 v14, 0, 1, s0
	v_cmp_gt_i32_e64 s0, 31, v19
	v_cvt_f32_f16_e32 v13, v13
	v_mul_f16_sdwa v3, v121, v3 dst_sel:DWORD dst_unused:UNUSED_PAD src0_sel:WORD_1 src1_sel:DWORD
	v_lshl_or_b32 v17, v14, 9, 0x7c00
	v_cndmask_b32_e64 v4, 0x7c00, v4, s0
	v_cmp_ne_u32_e64 s0, v15, v20
	v_cvt_f64_f32_e32 v[13:14], v13
	v_add_nc_u32_e32 v20, 0xfffffc10, v22
	v_lshrrev_b32_e32 v22, 8, v12
	v_fma_f16 v3, v121, v23, -v3
	v_cndmask_b32_e64 v15, 0, 1, s0
	v_cmp_ne_u32_e64 s0, 0, v11
	v_cvt_f32_f16_e32 v3, v3
	v_or_b32_e32 v15, v24, v15
	v_cndmask_b32_e64 v11, 0, 1, s0
	v_cmp_eq_u32_e64 s0, 0x40f, v19
	v_sub_nc_u32_e32 v19, 0x3f1, v25
	v_lshrrev_b32_e32 v24, 16, v1
	v_and_or_b32 v11, 0xffe, v22, v11
	v_cndmask_b32_e64 v4, v4, v17, s0
	v_lshl_or_b32 v17, v20, 12, v0
	v_cmp_gt_i32_e64 s0, 1, v20
	v_med3_i32 v19, v19, 0, 13
	v_and_or_b32 v2, 0x8000, v18, v4
	v_and_b32_e32 v4, 0xffff, v16
	v_cndmask_b32_e64 v15, v17, v15, s0
	v_or_b32_e32 v17, 0x1000, v11
	v_mul_f64 v[13:14], v[13:14], s[4:5]
	v_add_co_u32 v9, s0, v9, s6
	v_and_b32_e32 v16, 7, v15
	v_lshrrev_b32_e32 v18, v19, v17
	v_add_co_ci_u32_e64 v10, s0, s7, v10, s0
	v_lshl_or_b32 v4, v2, 16, v4
	v_cmp_lt_i32_e64 s0, 5, v16
	v_lshlrev_b32_e32 v19, v19, v18
	v_cmp_eq_u32_e64 s1, 3, v16
	v_lshrrev_b32_e32 v2, 2, v15
	v_add_nc_u32_e32 v16, 0xfffffc10, v25
	v_cmp_ne_u32_e64 s2, v19, v17
	s_or_b32 s0, s1, s0
	v_add_co_ci_u32_e64 v2, s0, 0, v2, s0
	v_cndmask_b32_e64 v15, 0, 1, s2
	v_cmp_ne_u32_e64 s0, 0, v0
	v_lshl_or_b32 v17, v16, 12, v11
	v_and_or_b32 v13, 0x1ff, v14, v13
	v_bfe_u32 v19, v14, 20, 11
	v_or_b32_e32 v15, v18, v15
	v_cndmask_b32_e64 v0, 0, 1, s0
	v_cmp_gt_i32_e64 s0, 1, v16
	v_lshrrev_b32_e32 v18, 8, v14
	v_lshrrev_b32_e32 v14, 16, v14
	v_lshl_or_b32 v0, v0, 9, 0x7c00
	v_cndmask_b32_e64 v15, v17, v15, s0
	v_cmp_gt_i32_e64 s0, 31, v20
	v_and_b32_e32 v17, 7, v15
	v_cndmask_b32_e64 v2, 0x7c00, v2, s0
	v_cmp_ne_u32_e64 s0, 0, v13
	v_lshrrev_b32_e32 v15, 2, v15
	v_cmp_eq_u32_e64 s1, 3, v17
	v_cndmask_b32_e64 v13, 0, 1, s0
	v_cmp_eq_u32_e64 s0, 0x40f, v20
	v_and_or_b32 v13, 0xffe, v18, v13
	v_cndmask_b32_e64 v20, v2, v0, s0
	v_cvt_f64_f32_e32 v[2:3], v3
	v_lshrrev_b32_e32 v18, 16, v6
	v_sub_nc_u32_e32 v0, 0x3f1, v19
	v_cmp_lt_i32_e64 s0, 5, v17
	v_or_b32_e32 v17, 0x1000, v13
	v_add_nc_u32_e32 v19, 0xfffffc10, v19
	v_mul_f16_sdwa v22, v120, v18 dst_sel:DWORD dst_unused:UNUSED_PAD src0_sel:WORD_1 src1_sel:DWORD
	v_med3_i32 v0, v0, 0, 13
	s_or_b32 s0, s1, s0
	v_and_or_b32 v20, 0x8000, v24, v20
	v_add_co_ci_u32_e64 v15, s0, 0, v15, s0
	v_fmac_f16_e32 v22, v120, v6
	v_lshrrev_b32_e32 v23, v0, v17
	v_cmp_gt_i32_e64 s0, 31, v16
	v_cvt_f32_f16_e32 v22, v22
	v_lshlrev_b32_e32 v25, v0, v23
	v_cndmask_b32_e64 v15, 0x7c00, v15, s0
	v_cmp_ne_u32_e64 s0, 0, v11
	v_mul_f64 v[0:1], v[2:3], s[4:5]
	v_cvt_f64_f32_e32 v[2:3], v22
	v_lshl_or_b32 v22, v19, 12, v13
	v_cndmask_b32_e64 v11, 0, 1, s0
	v_cmp_ne_u32_e64 s0, v25, v17
	v_lshl_or_b32 v11, v11, 9, 0x7c00
	v_cndmask_b32_e64 v17, 0, 1, s0
	v_cmp_eq_u32_e64 s0, 0x40f, v16
	v_lshrrev_b32_e32 v16, 16, v12
	v_or_b32_e32 v17, v23, v17
	v_cndmask_b32_e64 v15, v15, v11, s0
	v_cmp_gt_i32_e64 s0, 1, v19
	v_and_or_b32 v15, 0x8000, v16, v15
	v_cndmask_b32_e64 v17, v22, v17, s0
	v_add_co_u32 v11, s0, v9, s6
	v_add_co_ci_u32_e64 v12, s0, s7, v10, s0
	v_and_or_b32 v0, 0x1ff, v1, v0
	global_store_dword v[9:10], v21, off
	global_store_dword v[11:12], v4, off
	v_mul_f64 v[9:10], v[2:3], s[4:5]
	v_and_b32_e32 v16, 0xffff, v20
	v_and_b32_e32 v20, 7, v17
	v_cmp_ne_u32_e64 s1, 0, v0
	v_mul_f16_sdwa v2, v120, v6 dst_sel:DWORD dst_unused:UNUSED_PAD src0_sel:WORD_1 src1_sel:DWORD
	v_lshrrev_b32_e32 v3, 8, v1
	v_bfe_u32 v6, v1, 20, 11
	v_cmp_lt_i32_e64 s0, 5, v20
	v_cndmask_b32_e64 v0, 0, 1, s1
	v_cmp_eq_u32_e64 s1, 3, v20
	v_lshl_or_b32 v4, v15, 16, v16
	v_lshrrev_b32_e32 v15, 2, v17
	v_fma_f16 v2, v120, v18, -v2
	v_and_or_b32 v0, 0xffe, v3, v0
	s_or_b32 s0, s1, s0
	v_sub_nc_u32_e32 v3, 0x3f1, v6
	v_add_co_ci_u32_e64 v15, s0, 0, v15, s0
	v_add_co_u32 v11, s0, v11, s10
	v_cvt_f32_f16_e32 v2, v2
	v_add_co_ci_u32_e64 v12, s0, s3, v12, s0
	v_or_b32_e32 v16, 0x1000, v0
	v_med3_i32 v17, v3, 0, 13
	v_cmp_gt_i32_e64 s0, 31, v19
	v_cvt_f64_f32_e32 v[2:3], v2
	v_and_or_b32 v9, 0x1ff, v10, v9
	v_bfe_u32 v21, v10, 20, 11
	v_lshrrev_b32_e32 v18, v17, v16
	v_cndmask_b32_e64 v20, 0x7c00, v15, s0
	v_cmp_ne_u32_e64 s0, 0, v13
	v_add_nc_u32_e32 v6, 0xfffffc10, v6
	global_store_dword v[11:12], v4, off
	v_lshlrev_b32_e32 v15, v17, v18
	v_lshrrev_b32_e32 v17, 8, v10
	v_cndmask_b32_e64 v13, 0, 1, s0
	v_cmp_ne_u32_e64 s0, 0, v9
	v_lshl_or_b32 v22, v6, 12, v0
	v_lshrrev_b32_e32 v4, 16, v5
	v_lshrrev_b32_e32 v10, 16, v10
	v_lshl_or_b32 v13, v13, 9, 0x7c00
	v_cndmask_b32_e64 v9, 0, 1, s0
	v_cmp_ne_u32_e64 s0, v15, v16
	v_and_or_b32 v9, 0xffe, v17, v9
	v_cndmask_b32_e64 v15, 0, 1, s0
	v_sub_nc_u32_e32 v17, 0x3f1, v21
	v_cmp_gt_i32_e64 s0, 1, v6
	v_or_b32_e32 v18, v18, v15
	v_mul_f64 v[15:16], v[2:3], s[4:5]
	v_or_b32_e32 v2, 0x1000, v9
	v_med3_i32 v3, v17, 0, 13
	v_cndmask_b32_e64 v17, v22, v18, s0
	v_cmp_eq_u32_e64 s0, 0x40f, v19
	v_lshrrev_b32_e32 v18, v3, v2
	v_and_b32_e32 v19, 7, v17
	v_cndmask_b32_e64 v13, v20, v13, s0
	v_lshrrev_b32_e32 v17, 2, v17
	v_lshlrev_b32_e32 v3, v3, v18
	v_cmp_lt_i32_e64 s0, 5, v19
	v_and_or_b32 v13, 0x8000, v14, v13
	v_cmp_eq_u32_e64 s1, 3, v19
	v_mul_f16_sdwa v14, v119, v4 dst_sel:DWORD dst_unused:UNUSED_PAD src0_sel:WORD_1 src1_sel:DWORD
	v_cmp_ne_u32_e64 s2, v3, v2
	v_add_nc_u32_e32 v19, 0xfffffc10, v21
	v_and_b32_e32 v13, 0xffff, v13
	s_or_b32 s0, s1, s0
	v_and_or_b32 v3, 0x1ff, v16, v15
	v_fmac_f16_e32 v14, v119, v5
	v_add_co_ci_u32_e64 v15, s0, 0, v17, s0
	v_cndmask_b32_e64 v2, 0, 1, s2
	v_cmp_ne_u32_e64 s0, 0, v3
	v_cvt_f32_f16_e32 v14, v14
	v_bfe_u32 v21, v16, 20, 11
	v_mul_f16_sdwa v5, v119, v5 dst_sel:DWORD dst_unused:UNUSED_PAD src0_sel:WORD_1 src1_sel:DWORD
	v_or_b32_e32 v17, v18, v2
	v_cndmask_b32_e64 v20, 0, 1, s0
	v_cmp_ne_u32_e64 s0, 0, v0
	v_cvt_f64_f32_e32 v[2:3], v14
	v_lshl_or_b32 v18, v19, 12, v9
	v_lshrrev_b32_e32 v14, 8, v16
	v_fma_f16 v4, v119, v4, -v5
	v_cndmask_b32_e64 v0, 0, 1, s0
	v_cmp_gt_i32_e64 s0, 1, v19
	v_and_or_b32 v14, 0xffe, v14, v20
	v_cvt_f32_f16_e32 v4, v4
	v_lshl_or_b32 v0, v0, 9, 0x7c00
	v_cndmask_b32_e64 v17, v18, v17, s0
	v_sub_nc_u32_e32 v18, 0x3f1, v21
	v_cmp_gt_i32_e64 s0, 31, v6
	v_or_b32_e32 v22, 0x1000, v14
	v_and_b32_e32 v20, 7, v17
	v_med3_i32 v18, v18, 0, 13
	v_cndmask_b32_e64 v15, 0x7c00, v15, s0
	v_cmp_eq_u32_e64 s0, 0x40f, v6
	v_lshrrev_b32_e32 v6, 16, v1
	v_cmp_eq_u32_e64 s1, 3, v20
	v_mul_f64 v[1:2], v[2:3], s[4:5]
	v_cndmask_b32_e64 v0, v15, v0, s0
	v_lshrrev_b32_e32 v15, v18, v22
	v_cmp_lt_i32_e64 s0, 5, v20
	v_lshrrev_b32_e32 v3, 2, v17
	v_add_nc_u32_e32 v17, 0xfffffc10, v21
	v_and_or_b32 v0, 0x8000, v6, v0
	v_lshlrev_b32_e32 v6, v18, v15
	s_or_b32 s0, s1, s0
	v_add_co_ci_u32_e64 v3, s0, 0, v3, s0
	v_cmp_ne_u32_e64 s0, v6, v22
	v_cndmask_b32_e64 v5, 0, 1, s0
	v_cmp_ne_u32_e64 s0, 0, v9
	v_or_b32_e32 v15, v15, v5
	v_cndmask_b32_e64 v9, 0, 1, s0
	v_cmp_gt_i32_e64 s0, 31, v19
	v_cvt_f64_f32_e32 v[5:6], v4
	v_lshl_or_b32 v4, v17, 12, v14
	v_and_or_b32 v1, 0x1ff, v2, v1
	v_lshl_or_b32 v9, v9, 9, 0x7c00
	v_cndmask_b32_e64 v3, 0x7c00, v3, s0
	v_cmp_gt_i32_e64 s0, 1, v17
	v_bfe_u32 v20, v2, 20, 11
	v_cndmask_b32_e64 v15, v4, v15, s0
	v_cmp_eq_u32_e64 s0, 0x40f, v19
	v_lshrrev_b32_e32 v19, 8, v2
	v_and_b32_e32 v18, 7, v15
	v_cndmask_b32_e64 v9, v3, v9, s0
	v_cmp_ne_u32_e64 s0, 0, v1
	ds_read2_b32 v[3:4], v72 offset0:96 offset1:152
	v_lshrrev_b32_e32 v15, 2, v15
	v_cmp_eq_u32_e64 s1, 3, v18
	v_and_or_b32 v9, 0x8000, v10, v9
	v_cndmask_b32_e64 v1, 0, 1, s0
	v_cmp_lt_i32_e64 s0, 5, v18
	v_mul_f64 v[5:6], v[5:6], s[4:5]
	v_and_or_b32 v18, 0xffe, v19, v1
	s_or_b32 s0, s1, s0
	v_sub_nc_u32_e32 v1, 0x3f1, v20
	v_add_co_ci_u32_e64 v15, s0, 0, v15, s0
	v_cmp_ne_u32_e64 s0, 0, v14
	v_or_b32_e32 v19, 0x1000, v18
	v_med3_i32 v1, v1, 0, 13
	v_cndmask_b32_e64 v14, 0, 1, s0
	v_cmp_gt_i32_e64 s0, 31, v17
	s_waitcnt lgkmcnt(0)
	v_lshrrev_b32_e32 v21, 16, v3
	v_lshrrev_b32_e32 v22, v1, v19
	v_lshl_or_b32 v14, v14, 9, 0x7c00
	v_cndmask_b32_e64 v15, 0x7c00, v15, s0
	v_cmp_eq_u32_e64 s0, 0x40f, v17
	v_lshl_or_b32 v17, v0, 16, v13
	v_lshlrev_b32_e32 v0, v1, v22
	v_and_or_b32 v1, 0x1ff, v6, v5
	v_cndmask_b32_e64 v14, v15, v14, s0
	v_lshrrev_b32_e32 v15, 16, v16
	v_mul_f16_sdwa v16, v118, v21 dst_sel:DWORD dst_unused:UNUSED_PAD src0_sel:WORD_1 src1_sel:DWORD
	v_cmp_ne_u32_e64 s0, v0, v19
	v_add_nc_u32_e32 v19, 0xfffffc10, v20
	v_and_or_b32 v13, 0x8000, v15, v14
	v_fmac_f16_e32 v16, v118, v3
	v_cndmask_b32_e64 v5, 0, 1, s0
	v_cmp_ne_u32_e64 s0, 0, v1
	v_lshrrev_b32_e32 v14, 8, v6
	v_bfe_u32 v15, v6, 20, 11
	v_cvt_f32_f16_e32 v0, v16
	v_or_b32_e32 v5, v22, v5
	v_cndmask_b32_e64 v10, 0, 1, s0
	v_lshl_or_b32 v16, v19, 12, v18
	v_cmp_gt_i32_e64 s0, 1, v19
	v_cvt_f64_f32_e32 v[0:1], v0
	v_mul_f16_sdwa v3, v118, v3 dst_sel:DWORD dst_unused:UNUSED_PAD src0_sel:WORD_1 src1_sel:DWORD
	v_and_or_b32 v20, 0xffe, v14, v10
	v_sub_nc_u32_e32 v10, 0x3f1, v15
	v_cndmask_b32_e64 v5, v16, v5, s0
	v_and_b32_e32 v14, 0xffff, v9
	v_add_co_u32 v9, s0, v11, s6
	v_or_b32_e32 v16, 0x1000, v20
	v_med3_i32 v22, v10, 0, 13
	v_add_co_ci_u32_e64 v10, s0, s7, v12, s0
	v_and_b32_e32 v24, 7, v5
	v_lshl_or_b32 v23, v13, 16, v14
	v_lshrrev_b32_e32 v25, v22, v16
	v_add_co_u32 v11, s0, v9, s6
	v_add_co_ci_u32_e64 v12, s0, s7, v10, s0
	v_cmp_lt_i32_e64 s0, 5, v24
	v_cmp_eq_u32_e64 s1, 3, v24
	v_mul_f64 v[13:14], v[0:1], s[4:5]
	v_lshlrev_b32_e32 v0, v22, v25
	v_fma_f16 v1, v118, v21, -v3
	v_lshrrev_b32_e32 v3, 2, v5
	s_or_b32 s0, s1, s0
	v_add_nc_u32_e32 v5, 0xfffffc10, v15
	v_cmp_ne_u32_e64 s2, v0, v16
	v_cvt_f32_f16_e32 v1, v1
	v_add_co_ci_u32_e64 v3, s0, 0, v3, s0
	v_cmp_ne_u32_e64 s0, 0, v18
	v_cndmask_b32_e64 v0, 0, 1, s2
	v_cvt_f64_f32_e32 v[15:16], v1
	v_add_nc_u32_e32 v21, 0xa00, v102
	v_lshl_or_b32 v24, v5, 12, v20
	v_cndmask_b32_e64 v18, 0, 1, s0
	v_or_b32_e32 v22, v25, v0
	v_cmp_gt_i32_e64 s0, 1, v5
	ds_read2_b32 v[0:1], v21 offset0:74 offset1:130
	global_store_dword v[9:10], v17, off
	global_store_dword v[11:12], v23, off
	v_lshl_or_b32 v18, v18, 9, 0x7c00
	v_cndmask_b32_e64 v21, v24, v22, s0
	v_and_or_b32 v13, 0x1ff, v14, v13
	v_cmp_gt_i32_e64 s0, 31, v19
	v_lshrrev_b32_e32 v24, 8, v14
	v_bfe_u32 v25, v14, 20, 11
	v_and_b32_e32 v22, 7, v21
	v_cndmask_b32_e64 v3, 0x7c00, v3, s0
	v_cmp_ne_u32_e64 s0, 0, v13
	v_cmp_eq_u32_e64 s1, 3, v22
	v_cndmask_b32_e64 v13, 0, 1, s0
	v_cmp_eq_u32_e64 s0, 0x40f, v19
	v_lshrrev_b32_e32 v19, 16, v2
	v_and_or_b32 v13, 0xffe, v24, v13
	v_cndmask_b32_e64 v18, v3, v18, s0
	v_cmp_lt_i32_e64 s0, 5, v22
	v_mul_f64 v[2:3], v[15:16], s[4:5]
	v_lshrrev_b32_e32 v16, 2, v21
	v_sub_nc_u32_e32 v24, 0x3f1, v25
	v_or_b32_e32 v21, 0x1000, v13
	s_or_b32 s0, s1, s0
	s_waitcnt lgkmcnt(0)
	v_lshrrev_b32_e32 v15, 16, v0
	v_add_co_ci_u32_e64 v16, s0, 0, v16, s0
	v_med3_i32 v22, v24, 0, 13
	v_cmp_ne_u32_e64 s0, 0, v20
	v_mul_f16_sdwa v24, v117, v15 dst_sel:DWORD dst_unused:UNUSED_PAD src0_sel:WORD_1 src1_sel:DWORD
	v_and_or_b32 v18, 0x8000, v19, v18
	v_lshrrev_b32_e32 v26, v22, v21
	v_cndmask_b32_e64 v20, 0, 1, s0
	v_cmp_gt_i32_e64 s0, 31, v5
	v_fmac_f16_e32 v24, v117, v0
	v_and_b32_e32 v18, 0xffff, v18
	v_lshlrev_b32_e32 v19, v22, v26
	v_lshl_or_b32 v20, v20, 9, 0x7c00
	v_cndmask_b32_e64 v16, 0x7c00, v16, s0
	v_cmp_eq_u32_e64 s0, 0x40f, v5
	v_and_or_b32 v2, 0x1ff, v3, v2
	v_cvt_f32_f16_e32 v22, v24
	v_bfe_u32 v24, v3, 20, 11
	v_mul_f16_sdwa v0, v117, v0 dst_sel:DWORD dst_unused:UNUSED_PAD src0_sel:WORD_1 src1_sel:DWORD
	v_cndmask_b32_e64 v16, v16, v20, s0
	v_cmp_ne_u32_e64 s0, v19, v21
	v_lshrrev_b32_e32 v20, 16, v6
	v_cvt_f64_f32_e32 v[5:6], v22
	v_add_nc_u32_e32 v21, 0xfffffc10, v25
	v_lshrrev_b32_e32 v22, 8, v3
	v_cndmask_b32_e64 v19, 0, 1, s0
	v_cmp_ne_u32_e64 s0, 0, v2
	v_and_or_b32 v16, 0x8000, v20, v16
	v_lshl_or_b32 v20, v21, 12, v13
	v_fma_f16 v0, v117, v15, -v0
	v_or_b32_e32 v19, v26, v19
	v_cndmask_b32_e64 v2, 0, 1, s0
	v_cmp_gt_i32_e64 s0, 1, v21
	v_lshl_or_b32 v17, v16, 16, v18
	v_cvt_f32_f16_e32 v0, v0
	v_and_or_b32 v2, 0xffe, v22, v2
	v_sub_nc_u32_e32 v22, 0x3f1, v24
	v_cndmask_b32_e64 v19, v20, v19, s0
	v_add_co_u32 v11, s0, v11, s6
	v_or_b32_e32 v20, 0x1000, v2
	v_med3_i32 v22, v22, 0, 13
	v_and_b32_e32 v16, 7, v19
	v_mul_f64 v[9:10], v[5:6], s[4:5]
	v_add_co_ci_u32_e64 v12, s0, s7, v12, s0
	v_lshrrev_b32_e32 v18, v22, v20
	v_cmp_lt_i32_e64 s0, 5, v16
	v_cmp_eq_u32_e64 s1, 3, v16
	v_lshrrev_b32_e32 v6, 2, v19
	v_add_nc_u32_e32 v19, 0xfffffc10, v24
	v_lshlrev_b32_e32 v5, v22, v18
	v_cvt_f64_f32_e32 v[15:16], v0
	s_or_b32 s0, s1, s0
	global_store_dword v[11:12], v17, off
	v_cmp_ne_u32_e64 s2, v5, v20
	v_add_co_ci_u32_e64 v20, s0, 0, v6, s0
	v_cmp_ne_u32_e64 s0, 0, v13
	v_lshl_or_b32 v6, v19, 12, v2
	v_cndmask_b32_e64 v5, 0, 1, s2
	v_add_co_u32 v11, s2, v11, s10
	v_cndmask_b32_e64 v13, 0, 1, s0
	v_cmp_gt_i32_e64 s0, 1, v19
	v_or_b32_e32 v5, v18, v5
	v_and_or_b32 v9, 0x1ff, v10, v9
	v_lshrrev_b32_e32 v22, 8, v10
	v_lshl_or_b32 v13, v13, 9, 0x7c00
	v_bfe_u32 v23, v10, 20, 11
	v_cndmask_b32_e64 v0, v6, v5, s0
	v_cmp_gt_i32_e64 s0, 31, v21
	ds_read2_b32 v[5:6], v71 offset0:180 offset1:236
	v_add_co_ci_u32_e64 v12, s2, s3, v12, s2
	v_lshrrev_b32_e32 v10, 16, v10
	v_cndmask_b32_e64 v18, 0x7c00, v20, s0
	v_cmp_ne_u32_e64 s0, 0, v9
	v_and_b32_e32 v20, 7, v0
	v_lshrrev_b32_e32 v0, 2, v0
	v_cndmask_b32_e64 v9, 0, 1, s0
	v_cmp_eq_u32_e64 s0, 0x40f, v21
	v_cmp_eq_u32_e64 s1, 3, v20
	v_lshrrev_b32_e32 v21, 16, v14
	v_and_or_b32 v9, 0xffe, v22, v9
	v_cndmask_b32_e64 v18, v18, v13, s0
	v_cmp_lt_i32_e64 s0, 5, v20
	v_mul_f64 v[13:14], v[15:16], s[4:5]
	v_sub_nc_u32_e32 v22, 0x3f1, v23
	v_or_b32_e32 v20, 0x1000, v9
	v_and_or_b32 v18, 0x8000, v21, v18
	s_or_b32 s0, s1, s0
	v_add_co_ci_u32_e64 v0, s0, 0, v0, s0
	v_med3_i32 v15, v22, 0, 13
	v_cmp_ne_u32_e64 s0, 0, v2
	s_waitcnt lgkmcnt(0)
	v_lshrrev_b32_e32 v22, 16, v5
	v_lshrrev_b32_e32 v24, v15, v20
	v_cndmask_b32_e64 v2, 0, 1, s0
	v_cmp_gt_i32_e64 s0, 31, v19
	v_mul_f16_sdwa v16, v116, v22 dst_sel:DWORD dst_unused:UNUSED_PAD src0_sel:WORD_1 src1_sel:DWORD
	v_lshlrev_b32_e32 v15, v15, v24
	v_lshl_or_b32 v2, v2, 9, 0x7c00
	v_cndmask_b32_e64 v0, 0x7c00, v0, s0
	v_cmp_eq_u32_e64 s0, 0x40f, v19
	v_fmac_f16_e32 v16, v116, v5
	v_and_or_b32 v13, 0x1ff, v14, v13
	v_add_nc_u32_e32 v19, 0xfffffc10, v23
	v_lshrrev_b32_e32 v21, 8, v14
	v_cndmask_b32_e64 v0, v0, v2, s0
	v_cmp_ne_u32_e64 s0, v15, v20
	v_cvt_f32_f16_e32 v2, v16
	v_lshrrev_b32_e32 v16, 16, v3
	v_lshl_or_b32 v20, v19, 12, v9
	v_bfe_u32 v23, v14, 20, 11
	v_cndmask_b32_e64 v15, 0, 1, s0
	v_cmp_ne_u32_e64 s0, 0, v13
	v_cvt_f64_f32_e32 v[2:3], v2
	v_and_or_b32 v0, 0x8000, v16, v0
	v_and_b32_e32 v16, 0xffff, v18
	v_or_b32_e32 v15, v24, v15
	v_cndmask_b32_e64 v13, 0, 1, s0
	v_cmp_gt_i32_e64 s0, 1, v19
	v_mul_f16_sdwa v5, v116, v5 dst_sel:DWORD dst_unused:UNUSED_PAD src0_sel:WORD_1 src1_sel:DWORD
	v_lshl_or_b32 v0, v0, 16, v16
	v_lshrrev_b32_e32 v14, 16, v14
	v_and_or_b32 v13, 0xffe, v21, v13
	v_cndmask_b32_e64 v20, v20, v15, s0
	v_sub_nc_u32_e32 v15, 0x3f1, v23
	global_store_dword v[11:12], v0, off
	v_or_b32_e32 v21, 0x1000, v13
	v_and_b32_e32 v17, 7, v20
	v_med3_i32 v18, v15, 0, 13
	v_cmp_lt_i32_e64 s0, 5, v17
	v_lshrrev_b32_e32 v24, v18, v21
	v_cmp_eq_u32_e64 s1, 3, v17
	v_mul_f64 v[15:16], v[2:3], s[4:5]
	v_lshrrev_b32_e32 v3, 2, v20
	v_fma_f16 v2, v116, v22, -v5
	v_lshlrev_b32_e32 v5, v18, v24
	s_or_b32 s0, s1, s0
	v_add_co_ci_u32_e64 v20, s0, 0, v3, s0
	v_cmp_ne_u32_e64 s0, v5, v21
	v_cvt_f32_f16_e32 v2, v2
	v_add_nc_u32_e32 v21, 0xfffffc10, v23
	v_cndmask_b32_e64 v5, 0, 1, s0
	v_cmp_ne_u32_e64 s0, 0, v9
	v_cvt_f64_f32_e32 v[17:18], v2
	ds_read2_b32 v[2:3], v70 offset0:158 offset1:214
	v_lshl_or_b32 v22, v21, 12, v13
	v_or_b32_e32 v5, v24, v5
	v_cndmask_b32_e64 v9, 0, 1, s0
	v_cmp_gt_i32_e64 s0, 31, v19
	v_and_or_b32 v15, 0x1ff, v16, v15
	v_lshl_or_b32 v9, v9, 9, 0x7c00
	v_cndmask_b32_e64 v20, 0x7c00, v20, s0
	v_cmp_gt_i32_e64 s0, 1, v21
	v_cndmask_b32_e64 v5, v22, v5, s0
	v_cmp_eq_u32_e64 s0, 0x40f, v19
	v_lshrrev_b32_e32 v19, 8, v16
	s_waitcnt lgkmcnt(0)
	v_lshrrev_b32_e32 v22, 16, v2
	v_cndmask_b32_e64 v0, v20, v9, s0
	v_cmp_ne_u32_e64 s0, 0, v15
	v_bfe_u32 v20, v16, 20, 11
	v_and_b32_e32 v9, 7, v5
	v_mul_f64 v[17:18], v[17:18], s[4:5]
	v_lshrrev_b32_e32 v5, 2, v5
	v_cndmask_b32_e64 v15, 0, 1, s0
	v_mul_f16_sdwa v23, v115, v22 dst_sel:DWORD dst_unused:UNUSED_PAD src0_sel:WORD_1 src1_sel:DWORD
	v_cmp_lt_i32_e64 s0, 5, v9
	v_cmp_eq_u32_e64 s1, 3, v9
	v_and_or_b32 v0, 0x8000, v10, v0
	v_and_or_b32 v15, 0xffe, v19, v15
	v_sub_nc_u32_e32 v19, 0x3f1, v20
	v_fmac_f16_e32 v23, v115, v2
	s_or_b32 s0, s1, s0
	v_add_nc_u32_e32 v20, 0xfffffc10, v20
	v_or_b32_e32 v24, 0x1000, v15
	v_med3_i32 v9, v19, 0, 13
	v_add_co_ci_u32_e64 v5, s0, 0, v5, s0
	v_cmp_gt_i32_e64 s0, 31, v21
	v_cvt_f32_f16_e32 v10, v23
	v_lshrrev_b32_e32 v19, v9, v24
	v_mul_f16_sdwa v2, v115, v2 dst_sel:DWORD dst_unused:UNUSED_PAD src0_sel:WORD_1 src1_sel:DWORD
	v_lshrrev_b32_e32 v16, 16, v16
	v_cndmask_b32_e64 v5, 0x7c00, v5, s0
	v_cmp_ne_u32_e64 s0, 0, v13
	v_lshlrev_b32_e32 v23, v9, v19
	v_and_or_b32 v17, 0x1ff, v18, v17
	v_cvt_f64_f32_e32 v[9:10], v10
	v_bfe_u32 v25, v18, 20, 11
	v_cndmask_b32_e64 v13, 0, 1, s0
	v_cmp_ne_u32_e64 s0, v23, v24
	v_lshrrev_b32_e32 v24, 8, v18
	v_fma_f16 v2, v115, v22, -v2
	v_add_nc_u32_e32 v22, 0xfffffc10, v25
	v_lshl_or_b32 v13, v13, 9, 0x7c00
	v_cndmask_b32_e64 v23, 0, 1, s0
	v_cmp_ne_u32_e64 s0, 0, v17
	v_cvt_f32_f16_e32 v2, v2
	v_and_b32_e32 v0, 0xffff, v0
	v_lshrrev_b32_e32 v18, 16, v18
	v_or_b32_e32 v19, v19, v23
	v_cndmask_b32_e64 v17, 0, 1, s0
	v_cmp_eq_u32_e64 s0, 0x40f, v21
	v_sub_nc_u32_e32 v23, 0x3f1, v25
	v_and_or_b32 v17, 0xffe, v24, v17
	v_lshl_or_b32 v24, v20, 12, v15
	v_cndmask_b32_e64 v5, v5, v13, s0
	v_cmp_gt_i32_e64 s0, 1, v20
	v_med3_i32 v21, v23, 0, 13
	v_or_b32_e32 v13, 0x1000, v17
	v_mul_f64 v[9:10], v[9:10], s[4:5]
	v_and_or_b32 v5, 0x8000, v14, v5
	v_cndmask_b32_e64 v19, v24, v19, s0
	v_lshrrev_b32_e32 v23, v21, v13
	v_and_b32_e32 v24, 7, v19
	v_lshrrev_b32_e32 v19, 2, v19
	v_lshlrev_b32_e32 v14, v21, v23
	v_cmp_lt_i32_e64 s0, 5, v24
	v_cmp_eq_u32_e64 s1, 3, v24
	v_cmp_ne_u32_e64 s2, v14, v13
	v_cvt_f64_f32_e32 v[13:14], v2
	s_or_b32 s0, s1, s0
	v_cndmask_b32_e64 v21, 0, 1, s2
	v_add_co_ci_u32_e64 v2, s0, 0, v19, s0
	v_cmp_ne_u32_e64 s0, 0, v15
	v_and_or_b32 v9, 0x1ff, v10, v9
	v_or_b32_e32 v19, v23, v21
	v_lshl_or_b32 v21, v22, 12, v17
	v_lshrrev_b32_e32 v23, 16, v4
	v_cndmask_b32_e64 v15, 0, 1, s0
	v_cmp_gt_i32_e64 s0, 31, v20
	v_mul_f16_sdwa v24, v114, v23 dst_sel:DWORD dst_unused:UNUSED_PAD src0_sel:WORD_1 src1_sel:DWORD
	v_lshl_or_b32 v15, v15, 9, 0x7c00
	v_cndmask_b32_e64 v2, 0x7c00, v2, s0
	v_cmp_gt_i32_e64 s0, 1, v22
	v_fmac_f16_e32 v24, v114, v4
	v_mul_f64 v[13:14], v[13:14], s[4:5]
	v_cndmask_b32_e64 v19, v21, v19, s0
	v_cmp_ne_u32_e64 s0, 0, v9
	v_lshrrev_b32_e32 v21, 8, v10
	v_cndmask_b32_e64 v9, 0, 1, s0
	v_cmp_eq_u32_e64 s0, 0x40f, v20
	v_bfe_u32 v20, v10, 20, 11
	v_and_or_b32 v9, 0xffe, v21, v9
	v_cndmask_b32_e64 v2, v2, v15, s0
	v_and_b32_e32 v15, 7, v19
	v_sub_nc_u32_e32 v21, 0x3f1, v20
	v_add_nc_u32_e32 v20, 0xfffffc10, v20
	v_or_b32_e32 v25, 0x1000, v9
	v_and_or_b32 v2, 0x8000, v16, v2
	v_cmp_lt_i32_e64 s0, 5, v15
	v_cmp_eq_u32_e64 s1, 3, v15
	v_lshrrev_b32_e32 v15, 2, v19
	v_cvt_f32_f16_e32 v16, v24
	v_med3_i32 v21, v21, 0, 13
	v_and_or_b32 v13, 0x1ff, v14, v13
	s_or_b32 s0, s1, s0
	v_bfe_u32 v26, v14, 20, 11
	v_add_co_ci_u32_e64 v24, s0, 0, v15, s0
	v_cvt_f64_f32_e32 v[15:16], v16
	v_lshrrev_b32_e32 v19, v21, v25
	v_cmp_ne_u32_e64 s0, 0, v17
	v_and_b32_e32 v2, 0xffff, v2
	v_lshlrev_b32_e32 v21, v21, v19
	v_cndmask_b32_e64 v17, 0, 1, s0
	v_cmp_gt_i32_e64 s0, 31, v22
	v_lshl_or_b32 v17, v17, 9, 0x7c00
	v_cndmask_b32_e64 v24, 0x7c00, v24, s0
	v_cmp_ne_u32_e64 s0, v21, v25
	v_lshrrev_b32_e32 v25, 8, v14
	v_cndmask_b32_e64 v21, 0, 1, s0
	v_cmp_ne_u32_e64 s0, 0, v13
	v_mul_f64 v[15:16], v[15:16], s[4:5]
	v_or_b32_e32 v19, v19, v21
	v_cndmask_b32_e64 v13, 0, 1, s0
	v_cmp_eq_u32_e64 s0, 0x40f, v22
	v_lshl_or_b32 v21, v20, 12, v9
	v_sub_nc_u32_e32 v22, 0x3f1, v26
	v_and_or_b32 v13, 0xffe, v25, v13
	v_cndmask_b32_e64 v17, v24, v17, s0
	v_cmp_gt_i32_e64 s0, 1, v20
	v_mul_f16_sdwa v25, v114, v4 dst_sel:DWORD dst_unused:UNUSED_PAD src0_sel:WORD_1 src1_sel:DWORD
	v_med3_i32 v22, v22, 0, 13
	v_lshl_or_b32 v24, v5, 16, v0
	v_and_or_b32 v0, 0x8000, v18, v17
	v_cndmask_b32_e64 v19, v21, v19, s0
	v_or_b32_e32 v21, 0x1000, v13
	v_add_co_u32 v4, s0, v11, s6
	v_fma_f16 v11, v114, v23, -v25
	v_and_b32_e32 v17, 7, v19
	v_lshrrev_b32_e32 v18, v22, v21
	v_add_co_ci_u32_e64 v5, s0, s7, v12, s0
	v_cvt_f32_f16_e32 v11, v11
	v_cmp_lt_i32_e64 s0, 5, v17
	v_cmp_eq_u32_e64 s1, 3, v17
	v_lshrrev_b32_e32 v17, 2, v19
	v_lshl_or_b32 v2, v0, 16, v2
	v_lshlrev_b32_e32 v0, v22, v18
	v_and_or_b32 v15, 0x1ff, v16, v15
	v_cvt_f64_f32_e32 v[11:12], v11
	s_or_b32 s0, s1, s0
	v_add_nc_u32_e32 v19, 0xfffffc10, v26
	v_add_co_ci_u32_e64 v17, s0, 0, v17, s0
	v_cmp_ne_u32_e64 s2, v0, v21
	v_cmp_ne_u32_e64 s0, 0, v15
	v_lshrrev_b32_e32 v21, 8, v16
	v_bfe_u32 v22, v16, 20, 11
	v_lshrrev_b32_e32 v25, 16, v1
	v_cndmask_b32_e64 v0, 0, 1, s2
	v_cndmask_b32_e64 v15, 0, 1, s0
	v_cmp_ne_u32_e64 s0, 0, v9
	global_store_dword v[4:5], v24, off
	v_lshrrev_b32_e32 v16, 16, v16
	v_or_b32_e32 v0, v18, v0
	v_lshl_or_b32 v18, v19, 12, v13
	v_cndmask_b32_e64 v9, 0, 1, s0
	v_cmp_gt_i32_e64 s0, 1, v19
	v_and_or_b32 v15, 0xffe, v21, v15
	v_mul_f64 v[11:12], v[11:12], s[4:5]
	v_cndmask_b32_e64 v0, v18, v0, s0
	v_cmp_gt_i32_e64 s0, 31, v20
	v_sub_nc_u32_e32 v18, 0x3f1, v22
	v_lshl_or_b32 v9, v9, 9, 0x7c00
	v_or_b32_e32 v23, 0x1000, v15
	v_and_b32_e32 v21, 7, v0
	v_cndmask_b32_e64 v17, 0x7c00, v17, s0
	v_med3_i32 v18, v18, 0, 13
	v_cmp_eq_u32_e64 s0, 0x40f, v20
	v_lshrrev_b32_e32 v20, 16, v10
	v_cmp_eq_u32_e64 s1, 3, v21
	v_lshrrev_b32_e32 v0, 2, v0
	v_add_nc_u32_e32 v22, 0xfffffc10, v22
	v_cndmask_b32_e64 v17, v17, v9, s0
	v_cmp_lt_i32_e64 s0, 5, v21
	v_lshrrev_b32_e32 v21, v18, v23
	v_add_co_u32 v9, s2, v4, s6
	v_and_or_b32 v20, 0x8000, v20, v17
	s_or_b32 s0, s1, s0
	v_lshlrev_b32_e32 v17, v18, v21
	v_add_co_ci_u32_e64 v0, s0, 0, v0, s0
	v_and_or_b32 v11, 0x1ff, v12, v11
	v_mul_f16_sdwa v18, v113, v25 dst_sel:DWORD dst_unused:UNUSED_PAD src0_sel:WORD_1 src1_sel:DWORD
	v_cmp_ne_u32_e64 s0, v17, v23
	v_lshrrev_b32_e32 v23, 8, v12
	v_bfe_u32 v26, v12, 20, 11
	v_add_co_ci_u32_e64 v10, s2, s7, v5, s2
	v_cndmask_b32_e64 v17, 0, 1, s0
	v_cmp_ne_u32_e64 s0, 0, v13
	v_fmac_f16_e32 v18, v113, v1
	v_mul_f16_sdwa v1, v113, v1 dst_sel:DWORD dst_unused:UNUSED_PAD src0_sel:WORD_1 src1_sel:DWORD
	global_store_dword v[9:10], v2, off
	v_or_b32_e32 v17, v21, v17
	v_cndmask_b32_e64 v13, 0, 1, s0
	v_cmp_ne_u32_e64 s0, 0, v11
	v_lshl_or_b32 v21, v22, 12, v15
	v_cvt_f32_f16_e32 v18, v18
	v_fma_f16 v1, v113, v25, -v1
	v_lshl_or_b32 v13, v13, 9, 0x7c00
	v_cndmask_b32_e64 v11, 0, 1, s0
	v_cmp_gt_i32_e64 s0, 1, v22
	v_and_b32_e32 v20, 0xffff, v20
	v_lshrrev_b32_e32 v12, 16, v12
	v_and_or_b32 v11, 0xffe, v23, v11
	v_cndmask_b32_e64 v21, v21, v17, s0
	v_cmp_gt_i32_e64 s0, 31, v19
	v_sub_nc_u32_e32 v23, 0x3f1, v26
	v_cvt_f64_f32_e32 v[17:18], v18
	v_or_b32_e32 v28, 0x1000, v11
	v_and_b32_e32 v27, 7, v21
	v_cndmask_b32_e64 v0, 0x7c00, v0, s0
	v_cmp_eq_u32_e64 s0, 0x40f, v19
	v_med3_i32 v23, v23, 0, 13
	v_cmp_eq_u32_e64 s1, 3, v27
	v_cndmask_b32_e64 v0, v0, v13, s0
	v_lshrrev_b32_e32 v13, 16, v14
	v_lshrrev_b32_e32 v19, v23, v28
	v_cmp_lt_i32_e64 s0, 5, v27
	v_cvt_f32_f16_e32 v14, v1
	v_and_or_b32 v27, 0x8000, v13, v0
	v_lshrrev_b32_e32 v0, 2, v21
	v_lshlrev_b32_e32 v13, v23, v19
	s_or_b32 s0, s1, s0
	v_add_co_ci_u32_e64 v21, s0, 0, v0, s0
	v_cmp_ne_u32_e64 s0, v13, v28
	v_mul_f64 v[0:1], v[17:18], s[4:5]
	v_cvt_f64_f32_e32 v[13:14], v14
	v_add_nc_u32_e32 v18, 0xfffffc10, v26
	v_cndmask_b32_e64 v17, 0, 1, s0
	v_cmp_ne_u32_e64 s0, 0, v15
	v_or_b32_e32 v17, v19, v17
	v_cndmask_b32_e64 v15, 0, 1, s0
	v_cmp_gt_i32_e64 s0, 31, v22
	v_lshl_or_b32 v19, v18, 12, v11
	v_lshl_or_b32 v15, v15, 9, 0x7c00
	v_cndmask_b32_e64 v21, 0x7c00, v21, s0
	v_cmp_gt_i32_e64 s0, 1, v18
	v_cndmask_b32_e64 v17, v19, v17, s0
	v_cmp_eq_u32_e64 s0, 0x40f, v22
	v_and_or_b32 v0, 0x1ff, v1, v0
	v_lshl_or_b32 v19, v27, 16, v20
	v_and_b32_e32 v4, 7, v17
	v_cndmask_b32_e64 v15, v21, v15, s0
	v_cmp_ne_u32_e64 s2, 0, v0
	v_cmp_lt_i32_e64 s0, 5, v4
	v_cmp_eq_u32_e64 s1, 3, v4
	v_mul_f64 v[4:5], v[13:14], s[4:5]
	v_lshrrev_b32_e32 v13, 2, v17
	v_and_or_b32 v2, 0x8000, v16, v15
	v_cndmask_b32_e64 v0, 0, 1, s2
	v_lshrrev_b32_e32 v14, 8, v1
	v_bfe_u32 v15, v1, 20, 11
	s_or_b32 s0, s1, s0
	v_lshrrev_b32_e32 v16, 16, v6
	v_add_co_ci_u32_e64 v13, s0, 0, v13, s0
	v_and_or_b32 v0, 0xffe, v14, v0
	v_sub_nc_u32_e32 v14, 0x3f1, v15
	v_cmp_ne_u32_e64 s0, 0, v11
	v_mul_f16_sdwa v20, v112, v16 dst_sel:DWORD dst_unused:UNUSED_PAD src0_sel:WORD_1 src1_sel:DWORD
	v_and_b32_e32 v2, 0xffff, v2
	v_or_b32_e32 v17, 0x1000, v0
	v_med3_i32 v14, v14, 0, 13
	v_cndmask_b32_e64 v11, 0, 1, s0
	v_cmp_gt_i32_e64 s0, 31, v18
	v_fmac_f16_e32 v20, v112, v6
	v_mul_f16_sdwa v6, v112, v6 dst_sel:DWORD dst_unused:UNUSED_PAD src0_sel:WORD_1 src1_sel:DWORD
	v_lshrrev_b32_e32 v21, v14, v17
	v_lshl_or_b32 v11, v11, 9, 0x7c00
	v_cndmask_b32_e64 v13, 0x7c00, v13, s0
	v_and_or_b32 v4, 0x1ff, v5, v4
	v_cmp_eq_u32_e64 s0, 0x40f, v18
	v_lshlrev_b32_e32 v18, v14, v21
	v_bfe_u32 v22, v5, 20, 11
	v_fma_f16 v6, v112, v16, -v6
	v_cndmask_b32_e64 v11, v13, v11, s0
	v_cmp_ne_u32_e64 s0, 0, v4
	v_cvt_f32_f16_e32 v13, v20
	v_lshrrev_b32_e32 v20, 8, v5
	v_cvt_f32_f16_e32 v6, v6
	v_and_or_b32 v11, 0x8000, v12, v11
	v_cndmask_b32_e64 v4, 0, 1, s0
	v_cmp_ne_u32_e64 s0, v18, v17
	v_cvt_f64_f32_e32 v[13:14], v13
	v_add_nc_u32_e32 v18, 0xfffffc10, v15
	v_sub_nc_u32_e32 v15, 0x3f1, v22
	v_and_or_b32 v4, 0xffe, v20, v4
	v_cndmask_b32_e64 v17, 0, 1, s0
	v_lshl_or_b32 v23, v11, 16, v2
	v_lshl_or_b32 v20, v18, 12, v0
	v_med3_i32 v15, v15, 0, 13
	v_cmp_gt_i32_e64 s0, 1, v18
	v_or_b32_e32 v17, v21, v17
	v_or_b32_e32 v21, 0x1000, v4
	v_lshrrev_b32_e32 v5, 16, v5
	v_cndmask_b32_e64 v17, v20, v17, s0
	v_lshrrev_b32_e32 v20, v15, v21
	v_add_co_u32 v9, s0, v9, s6
	v_add_co_ci_u32_e64 v10, s0, s7, v10, s0
	v_lshlrev_b32_e32 v15, v15, v20
	v_and_b32_e32 v2, 7, v17
	v_mul_f64 v[11:12], v[13:14], s[4:5]
	v_add_co_u32 v13, s0, v9, s10
	v_cmp_ne_u32_e64 s1, v15, v21
	v_add_co_ci_u32_e64 v14, s0, s3, v10, s0
	v_cmp_lt_i32_e64 s0, 5, v2
	v_add_nc_u32_e32 v21, 0xfffffc10, v22
	v_cndmask_b32_e64 v15, 0, 1, s1
	v_cmp_eq_u32_e64 s1, 3, v2
	v_lshrrev_b32_e32 v2, 2, v17
	global_store_dword v[9:10], v19, off
	global_store_dword v[13:14], v23, off
	v_or_b32_e32 v17, v20, v15
	s_or_b32 s0, s1, s0
	v_cvt_f64_f32_e32 v[15:16], v6
	v_add_co_ci_u32_e64 v2, s0, 0, v2, s0
	v_cmp_ne_u32_e64 s0, 0, v0
	v_lshl_or_b32 v20, v21, 12, v4
	v_and_or_b32 v11, 0x1ff, v12, v11
	v_cndmask_b32_e64 v0, 0, 1, s0
	v_cmp_gt_i32_e64 s0, 1, v21
	v_bfe_u32 v22, v12, 20, 11
	v_lshl_or_b32 v0, v0, 9, 0x7c00
	v_cndmask_b32_e64 v6, v20, v17, s0
	v_cmp_gt_i32_e64 s0, 31, v18
	v_lshrrev_b32_e32 v20, 8, v12
	v_and_b32_e32 v17, 7, v6
	v_cndmask_b32_e64 v2, 0x7c00, v2, s0
	v_cmp_ne_u32_e64 s0, 0, v11
	v_lshrrev_b32_e32 v6, 2, v6
	v_cmp_eq_u32_e64 s1, 3, v17
	v_cndmask_b32_e64 v11, 0, 1, s0
	v_cmp_eq_u32_e64 s0, 0x40f, v18
	v_lshrrev_b32_e32 v18, 16, v1
	v_and_or_b32 v11, 0xffe, v20, v11
	v_cndmask_b32_e64 v0, v2, v0, s0
	v_cmp_lt_i32_e64 s0, 5, v17
	v_mul_f64 v[1:2], v[15:16], s[4:5]
	v_sub_nc_u32_e32 v20, 0x3f1, v22
	v_or_b32_e32 v16, 0x1000, v11
	v_lshrrev_b32_e32 v15, 16, v3
	s_or_b32 s0, s1, s0
	v_and_or_b32 v18, 0x8000, v18, v0
	v_add_co_ci_u32_e64 v6, s0, 0, v6, s0
	v_med3_i32 v17, v20, 0, 13
	v_cmp_ne_u32_e64 s0, 0, v4
	v_mul_f16_sdwa v20, v111, v15 dst_sel:DWORD dst_unused:UNUSED_PAD src0_sel:WORD_1 src1_sel:DWORD
	v_and_b32_e32 v18, 0xffff, v18
	v_lshrrev_b32_e32 v24, v17, v16
	v_cndmask_b32_e64 v4, 0, 1, s0
	v_cmp_gt_i32_e64 s0, 31, v21
	v_fmac_f16_e32 v20, v111, v3
	v_lshlrev_b32_e32 v17, v17, v24
	v_lshl_or_b32 v4, v4, 9, 0x7c00
	v_cndmask_b32_e64 v6, 0x7c00, v6, s0
	v_cmp_eq_u32_e64 s0, 0x40f, v21
	v_cvt_f32_f16_e32 v0, v20
	v_lshrrev_b32_e32 v20, 8, v2
	v_bfe_u32 v21, v2, 20, 11
	v_cndmask_b32_e64 v4, v6, v4, s0
	v_and_or_b32 v6, 0x1ff, v2, v1
	v_cmp_ne_u32_e64 s0, v17, v16
	v_cvt_f64_f32_e32 v[0:1], v0
	v_add_nc_u32_e32 v17, 0xfffffc10, v22
	v_and_or_b32 v4, 0x8000, v5, v4
	v_cndmask_b32_e64 v16, 0, 1, s0
	v_cmp_ne_u32_e64 s0, 0, v6
	v_lshl_or_b32 v18, v4, 16, v18
	v_or_b32_e32 v5, v24, v16
	v_cndmask_b32_e64 v6, 0, 1, s0
	v_lshl_or_b32 v16, v17, 12, v11
	v_cmp_gt_i32_e64 s0, 1, v17
	v_and_or_b32 v6, 0xffe, v20, v6
	v_sub_nc_u32_e32 v20, 0x3f1, v21
	v_cndmask_b32_e64 v16, v16, v5, s0
	v_add_co_u32 v9, s0, v13, s6
	v_or_b32_e32 v22, 0x1000, v6
	v_med3_i32 v20, v20, 0, 13
	v_and_b32_e32 v19, 7, v16
	v_mul_f64 v[4:5], v[0:1], s[4:5]
	v_mul_f16_sdwa v0, v111, v3 dst_sel:DWORD dst_unused:UNUSED_PAD src0_sel:WORD_1 src1_sel:DWORD
	v_add_co_ci_u32_e64 v10, s0, s7, v14, s0
	v_lshrrev_b32_e32 v23, v20, v22
	v_cmp_lt_i32_e64 s0, 5, v19
	v_cmp_eq_u32_e64 s1, 3, v19
	v_fma_f16 v0, v111, v15, -v0
	v_lshrrev_b32_e32 v3, 2, v16
	v_lshlrev_b32_e32 v1, v20, v23
	v_add_nc_u32_e32 v15, 0xfffffc10, v21
	s_or_b32 s0, s1, s0
	v_cvt_f32_f16_e32 v0, v0
	v_add_co_ci_u32_e64 v3, s0, 0, v3, s0
	v_cmp_ne_u32_e64 s2, v1, v22
	v_cmp_ne_u32_e64 s0, 0, v11
	v_cvt_f64_f32_e32 v[13:14], v0
	v_lshl_or_b32 v19, v15, 12, v6
	global_store_dword v[9:10], v18, off
	v_cndmask_b32_e64 v1, 0, 1, s2
	v_cndmask_b32_e64 v11, 0, 1, s0
	v_cmp_gt_i32_e64 s0, 1, v15
	v_and_or_b32 v4, 0x1ff, v5, v4
	v_lshrrev_b32_e32 v20, 8, v5
	v_or_b32_e32 v16, v23, v1
	ds_read2_b32 v[0:1], v69 offset0:80 offset1:136
	v_lshl_or_b32 v11, v11, 9, 0x7c00
	v_bfe_u32 v21, v5, 20, 11
	v_lshrrev_b32_e32 v5, 16, v5
	v_cndmask_b32_e64 v16, v19, v16, s0
	v_cmp_gt_i32_e64 s0, 31, v17
	v_and_b32_e32 v19, 7, v16
	v_cndmask_b32_e64 v3, 0x7c00, v3, s0
	v_cmp_ne_u32_e64 s0, 0, v4
	v_cmp_eq_u32_e64 s1, 3, v19
	v_cndmask_b32_e64 v4, 0, 1, s0
	v_cmp_eq_u32_e64 s0, 0x40f, v17
	v_lshrrev_b32_e32 v17, 16, v12
	s_waitcnt lgkmcnt(0)
	v_lshrrev_b32_e32 v22, 16, v0
	v_and_or_b32 v4, 0xffe, v20, v4
	v_cndmask_b32_e64 v3, v3, v11, s0
	v_cmp_lt_i32_e64 s0, 5, v19
	v_mul_f64 v[11:12], v[13:14], s[4:5]
	v_lshrrev_b32_e32 v13, 2, v16
	v_sub_nc_u32_e32 v20, 0x3f1, v21
	v_or_b32_e32 v14, 0x1000, v4
	s_or_b32 s0, s1, s0
	v_mul_f16_sdwa v19, v110, v22 dst_sel:DWORD dst_unused:UNUSED_PAD src0_sel:WORD_1 src1_sel:DWORD
	v_add_co_ci_u32_e64 v13, s0, 0, v13, s0
	v_med3_i32 v16, v20, 0, 13
	v_cmp_ne_u32_e64 s0, 0, v6
	v_fmac_f16_e32 v19, v110, v0
	v_and_or_b32 v17, 0x8000, v17, v3
	v_mul_f16_sdwa v0, v110, v0 dst_sel:DWORD dst_unused:UNUSED_PAD src0_sel:WORD_1 src1_sel:DWORD
	v_lshrrev_b32_e32 v20, v16, v14
	v_cndmask_b32_e64 v6, 0, 1, s0
	v_cmp_gt_i32_e64 s0, 31, v15
	v_cvt_f32_f16_e32 v3, v19
	v_add_nc_u32_e32 v19, 0xfffffc10, v21
	v_lshlrev_b32_e32 v16, v16, v20
	v_lshl_or_b32 v6, v6, 9, 0x7c00
	v_cndmask_b32_e64 v13, 0x7c00, v13, s0
	v_cmp_eq_u32_e64 s0, 0x40f, v15
	v_and_or_b32 v11, 0x1ff, v12, v11
	v_lshrrev_b32_e32 v15, 8, v12
	v_and_b32_e32 v17, 0xffff, v17
	v_fma_f16 v0, v110, v22, -v0
	v_cndmask_b32_e64 v6, v13, v6, s0
	v_cmp_ne_u32_e64 s0, v16, v14
	v_lshrrev_b32_e32 v13, 16, v2
	v_cvt_f64_f32_e32 v[2:3], v3
	v_bfe_u32 v16, v12, 20, 11
	v_cvt_f32_f16_e32 v0, v0
	v_cndmask_b32_e64 v14, 0, 1, s0
	v_cmp_ne_u32_e64 s0, 0, v11
	v_and_or_b32 v6, 0x8000, v13, v6
	v_lshrrev_b32_e32 v12, 16, v12
	v_or_b32_e32 v13, v20, v14
	v_cndmask_b32_e64 v11, 0, 1, s0
	v_lshl_or_b32 v14, v19, 12, v4
	v_cmp_gt_i32_e64 s0, 1, v19
	v_lshl_or_b32 v17, v6, 16, v17
	v_and_or_b32 v11, 0xffe, v15, v11
	v_sub_nc_u32_e32 v15, 0x3f1, v16
	v_cndmask_b32_e64 v20, v14, v13, s0
	v_add_co_u32 v9, s0, v9, s6
	v_or_b32_e32 v21, 0x1000, v11
	v_med3_i32 v15, v15, 0, 13
	v_and_b32_e32 v6, 7, v20
	v_mul_f64 v[13:14], v[2:3], s[4:5]
	v_add_co_ci_u32_e64 v10, s0, s7, v10, s0
	v_lshrrev_b32_e32 v18, v15, v21
	v_cmp_lt_i32_e64 s0, 5, v6
	v_cmp_eq_u32_e64 s1, 3, v6
	v_lshrrev_b32_e32 v3, 2, v20
	v_add_nc_u32_e32 v20, 0xfffffc10, v16
	v_lshlrev_b32_e32 v2, v15, v18
	v_cvt_f64_f32_e32 v[15:16], v0
	s_or_b32 s0, s1, s0
	global_store_dword v[9:10], v17, off
	v_add_co_ci_u32_e64 v0, s0, 0, v3, s0
	v_cmp_ne_u32_e64 s2, v2, v21
	v_cmp_ne_u32_e64 s0, 0, v4
	ds_read2_b32 v[3:4], v60 offset0:58 offset1:114
	v_cndmask_b32_e64 v2, 0, 1, s2
	v_cndmask_b32_e64 v6, 0, 1, s0
	v_cmp_gt_i32_e64 s0, 31, v19
	v_and_or_b32 v13, 0x1ff, v14, v13
	v_bfe_u32 v21, v14, 20, 11
	v_or_b32_e32 v2, v18, v2
	v_lshl_or_b32 v18, v20, 12, v11
	v_cndmask_b32_e64 v0, 0x7c00, v0, s0
	v_cmp_gt_i32_e64 s0, 1, v20
	v_lshl_or_b32 v6, v6, 9, 0x7c00
	v_mul_f64 v[15:16], v[15:16], s[4:5]
	v_cndmask_b32_e64 v2, v18, v2, s0
	v_cmp_ne_u32_e64 s0, 0, v13
	v_lshrrev_b32_e32 v18, 8, v14
	s_waitcnt lgkmcnt(0)
	v_lshrrev_b32_e32 v22, 16, v3
	v_cndmask_b32_e64 v13, 0, 1, s0
	v_cmp_eq_u32_e64 s0, 0x40f, v19
	v_and_or_b32 v13, 0xffe, v18, v13
	v_cndmask_b32_e64 v0, v0, v6, s0
	v_and_b32_e32 v6, 7, v2
	v_sub_nc_u32_e32 v18, 0x3f1, v21
	v_lshrrev_b32_e32 v2, 2, v2
	v_or_b32_e32 v19, 0x1000, v13
	v_and_or_b32 v0, 0x8000, v5, v0
	v_cmp_lt_i32_e64 s0, 5, v6
	v_cmp_eq_u32_e64 s1, 3, v6
	v_med3_i32 v18, v18, 0, 13
	v_mul_f16_sdwa v5, v109, v22 dst_sel:DWORD dst_unused:UNUSED_PAD src0_sel:WORD_1 src1_sel:DWORD
	v_and_or_b32 v15, 0x1ff, v16, v15
	v_bfe_u32 v24, v16, 20, 11
	s_or_b32 s0, s1, s0
	v_lshrrev_b32_e32 v23, v18, v19
	v_add_co_ci_u32_e64 v2, s0, 0, v2, s0
	v_cmp_ne_u32_e64 s0, 0, v11
	v_fmac_f16_e32 v5, v109, v3
	v_lshlrev_b32_e32 v11, v18, v23
	v_add_nc_u32_e32 v21, 0xfffffc10, v21
	v_and_b32_e32 v0, 0xffff, v0
	v_cndmask_b32_e64 v6, 0, 1, s0
	v_cmp_gt_i32_e64 s0, 31, v20
	v_cvt_f32_f16_e32 v5, v5
	v_mul_f16_sdwa v3, v109, v3 dst_sel:DWORD dst_unused:UNUSED_PAD src0_sel:WORD_1 src1_sel:DWORD
	v_lshl_or_b32 v18, v6, 9, 0x7c00
	v_cndmask_b32_e64 v2, 0x7c00, v2, s0
	v_cmp_ne_u32_e64 s0, v11, v19
	v_cvt_f64_f32_e32 v[5:6], v5
	v_lshrrev_b32_e32 v19, 8, v16
	v_fma_f16 v3, v109, v22, -v3
	v_lshrrev_b32_e32 v16, 16, v16
	v_cndmask_b32_e64 v11, 0, 1, s0
	v_cmp_ne_u32_e64 s0, 0, v15
	v_cvt_f32_f16_e32 v3, v3
	v_or_b32_e32 v11, v23, v11
	v_cndmask_b32_e64 v15, 0, 1, s0
	v_cmp_eq_u32_e64 s0, 0x40f, v20
	v_and_or_b32 v15, 0xffe, v19, v15
	v_cndmask_b32_e64 v2, v2, v18, s0
	v_sub_nc_u32_e32 v18, 0x3f1, v24
	v_lshl_or_b32 v19, v21, 12, v13
	v_cmp_gt_i32_e64 s0, 1, v21
	v_or_b32_e32 v20, 0x1000, v15
	v_and_or_b32 v2, 0x8000, v12, v2
	v_med3_i32 v18, v18, 0, 13
	v_cndmask_b32_e64 v19, v19, v11, s0
	v_mul_f64 v[11:12], v[5:6], s[4:5]
	v_lshl_or_b32 v0, v2, 16, v0
	v_lshrrev_b32_e32 v17, v18, v20
	v_and_b32_e32 v23, 7, v19
	v_lshrrev_b32_e32 v5, 2, v19
	v_lshlrev_b32_e32 v2, v18, v17
	v_add_nc_u32_e32 v18, 0xfffffc10, v24
	v_cmp_lt_i32_e64 s0, 5, v23
	v_cmp_eq_u32_e64 s1, 3, v23
	v_cmp_ne_u32_e64 s2, v2, v20
	s_or_b32 s0, s1, s0
	v_add_co_ci_u32_e64 v19, s0, 0, v5, s0
	v_cndmask_b32_e64 v2, 0, 1, s2
	v_cmp_ne_u32_e64 s0, 0, v13
	v_cvt_f64_f32_e32 v[5:6], v3
	v_and_or_b32 v11, 0x1ff, v12, v11
	v_lshrrev_b32_e32 v22, 8, v12
	v_or_b32_e32 v2, v17, v2
	v_lshl_or_b32 v17, v18, 12, v15
	v_cndmask_b32_e64 v13, 0, 1, s0
	v_cmp_gt_i32_e64 s0, 1, v18
	v_bfe_u32 v23, v12, 20, 11
	v_lshl_or_b32 v13, v13, 9, 0x7c00
	v_cndmask_b32_e64 v17, v17, v2, s0
	v_cmp_gt_i32_e64 s0, 31, v21
	ds_read2_b32 v[2:3], v59 offset0:36 offset1:92
	v_and_b32_e32 v20, 7, v17
	v_cndmask_b32_e64 v19, 0x7c00, v19, s0
	v_cmp_ne_u32_e64 s0, 0, v11
	v_cmp_eq_u32_e64 s1, 3, v20
	v_cndmask_b32_e64 v11, 0, 1, s0
	v_cmp_eq_u32_e64 s0, 0x40f, v21
	v_lshrrev_b32_e32 v21, 16, v14
	v_and_or_b32 v11, 0xffe, v22, v11
	v_cndmask_b32_e64 v19, v19, v13, s0
	v_cmp_lt_i32_e64 s0, 5, v20
	v_mul_f64 v[13:14], v[5:6], s[4:5]
	v_lshrrev_b32_e32 v5, 2, v17
	v_sub_nc_u32_e32 v22, 0x3f1, v23
	v_or_b32_e32 v6, 0x1000, v11
	s_or_b32 s0, s1, s0
	s_waitcnt lgkmcnt(0)
	v_lshrrev_b32_e32 v20, 16, v2
	v_add_co_ci_u32_e64 v5, s0, 0, v5, s0
	v_med3_i32 v17, v22, 0, 13
	v_cmp_ne_u32_e64 s0, 0, v15
	v_mul_f16_sdwa v24, v108, v20 dst_sel:DWORD dst_unused:UNUSED_PAD src0_sel:WORD_1 src1_sel:DWORD
	v_and_or_b32 v19, 0x8000, v21, v19
	v_add_nc_u32_e32 v21, 0xfffffc10, v23
	v_lshrrev_b32_e32 v22, v17, v6
	v_cndmask_b32_e64 v15, 0, 1, s0
	v_cmp_gt_i32_e64 s0, 31, v18
	v_fmac_f16_e32 v24, v108, v2
	v_and_b32_e32 v19, 0xffff, v19
	v_lshlrev_b32_e32 v17, v17, v22
	v_lshl_or_b32 v15, v15, 9, 0x7c00
	v_cndmask_b32_e64 v5, 0x7c00, v5, s0
	v_cmp_eq_u32_e64 s0, 0x40f, v18
	v_and_or_b32 v13, 0x1ff, v14, v13
	v_lshrrev_b32_e32 v18, 8, v14
	v_bfe_u32 v23, v14, 20, 11
	v_mul_f16_sdwa v2, v108, v2 dst_sel:DWORD dst_unused:UNUSED_PAD src0_sel:WORD_1 src1_sel:DWORD
	v_cndmask_b32_e64 v15, v5, v15, s0
	v_cmp_ne_u32_e64 s0, v17, v6
	v_cvt_f32_f16_e32 v5, v24
	v_fma_f16 v2, v108, v20, -v2
	v_and_or_b32 v15, 0x8000, v16, v15
	v_cndmask_b32_e64 v17, 0, 1, s0
	v_cmp_ne_u32_e64 s0, 0, v13
	v_cvt_f64_f32_e32 v[5:6], v5
	v_cvt_f32_f16_e32 v2, v2
	v_lshl_or_b32 v26, v15, 16, v19
	v_or_b32_e32 v16, v22, v17
	v_cndmask_b32_e64 v13, 0, 1, s0
	v_lshl_or_b32 v17, v21, 12, v11
	v_cmp_gt_i32_e64 s0, 1, v21
	v_and_or_b32 v13, 0xffe, v18, v13
	v_sub_nc_u32_e32 v18, 0x3f1, v23
	v_cndmask_b32_e64 v22, v17, v16, s0
	v_add_co_u32 v9, s0, v9, s6
	v_or_b32_e32 v24, 0x1000, v13
	v_med3_i32 v25, v18, 0, 13
	v_add_co_ci_u32_e64 v10, s0, s7, v10, s0
	v_and_b32_e32 v19, 7, v22
	v_add_co_u32 v17, s0, v9, s10
	v_lshrrev_b32_e32 v27, v25, v24
	v_mul_f64 v[15:16], v[5:6], s[4:5]
	v_add_co_ci_u32_e64 v18, s0, s3, v10, s0
	v_cmp_lt_i32_e64 s0, 5, v19
	v_lshlrev_b32_e32 v5, v25, v27
	v_cmp_eq_u32_e64 s1, 3, v19
	v_lshrrev_b32_e32 v6, 2, v22
	v_add_nc_u32_e32 v22, 0xfffffc10, v23
	v_cvt_f64_f32_e32 v[19:20], v2
	v_cmp_ne_u32_e64 s2, v5, v24
	s_or_b32 s0, s1, s0
	v_add_co_ci_u32_e64 v23, s0, 0, v6, s0
	v_cndmask_b32_e64 v5, 0, 1, s2
	v_cmp_ne_u32_e64 s0, 0, v11
	v_lshl_or_b32 v2, v22, 12, v13
	v_or_b32_e32 v24, v27, v5
	v_cndmask_b32_e64 v11, 0, 1, s0
	v_cmp_gt_i32_e64 s0, 1, v22
	v_and_or_b32 v15, 0x1ff, v16, v15
	ds_read2_b32 v[5:6], v57 offset0:14 offset1:70
	v_lshrrev_b32_e32 v25, 8, v16
	v_lshl_or_b32 v11, v11, 9, 0x7c00
	v_cndmask_b32_e64 v2, v2, v24, s0
	v_cmp_gt_i32_e64 s0, 31, v21
	v_bfe_u32 v27, v16, 20, 11
	global_store_dword v[9:10], v0, off
	global_store_dword v[17:18], v26, off
	v_lshrrev_b32_e32 v16, 16, v16
	v_and_b32_e32 v24, 7, v2
	v_cndmask_b32_e64 v23, 0x7c00, v23, s0
	v_cmp_ne_u32_e64 s0, 0, v15
	v_lshrrev_b32_e32 v2, 2, v2
	v_cmp_eq_u32_e64 s1, 3, v24
	v_cndmask_b32_e64 v15, 0, 1, s0
	v_cmp_eq_u32_e64 s0, 0x40f, v21
	v_and_or_b32 v15, 0xffe, v25, v15
	v_cndmask_b32_e64 v21, v23, v11, s0
	v_cmp_lt_i32_e64 s0, 5, v24
	v_lshrrev_b32_e32 v23, 16, v12
	v_mul_f64 v[11:12], v[19:20], s[4:5]
	v_sub_nc_u32_e32 v25, 0x3f1, v27
	v_or_b32_e32 v20, 0x1000, v15
	s_or_b32 s0, s1, s0
	s_waitcnt lgkmcnt(0)
	v_lshrrev_b32_e32 v19, 16, v5
	v_add_co_ci_u32_e64 v2, s0, 0, v2, s0
	v_med3_i32 v24, v25, 0, 13
	v_cmp_ne_u32_e64 s0, 0, v13
	v_mul_f16_sdwa v25, v107, v19 dst_sel:DWORD dst_unused:UNUSED_PAD src0_sel:WORD_1 src1_sel:DWORD
	v_and_or_b32 v21, 0x8000, v23, v21
	v_lshrrev_b32_e32 v28, v24, v20
	v_cndmask_b32_e64 v13, 0, 1, s0
	v_cmp_gt_i32_e64 s0, 31, v22
	v_fmac_f16_e32 v25, v107, v5
	v_and_b32_e32 v21, 0xffff, v21
	v_lshlrev_b32_e32 v23, v24, v28
	v_lshl_or_b32 v13, v13, 9, 0x7c00
	v_cndmask_b32_e64 v2, 0x7c00, v2, s0
	v_cmp_eq_u32_e64 s0, 0x40f, v22
	v_cvt_f32_f16_e32 v24, v25
	v_and_or_b32 v11, 0x1ff, v12, v11
	v_lshrrev_b32_e32 v22, 16, v14
	v_bfe_u32 v25, v12, 20, 11
	v_cndmask_b32_e64 v2, v2, v13, s0
	v_cmp_ne_u32_e64 s0, v23, v20
	v_cvt_f64_f32_e32 v[13:14], v24
	v_add_nc_u32_e32 v23, 0xfffffc10, v27
	v_lshrrev_b32_e32 v24, 8, v12
	v_and_or_b32 v2, 0x8000, v22, v2
	v_cndmask_b32_e64 v20, 0, 1, s0
	v_cmp_ne_u32_e64 s0, 0, v11
	v_lshl_or_b32 v22, v23, 12, v15
	v_mul_f16_sdwa v5, v107, v5 dst_sel:DWORD dst_unused:UNUSED_PAD src0_sel:WORD_1 src1_sel:DWORD
	v_lshl_or_b32 v0, v2, 16, v21
	v_or_b32_e32 v20, v28, v20
	v_cndmask_b32_e64 v11, 0, 1, s0
	v_cmp_gt_i32_e64 s0, 1, v23
	v_fma_f16 v5, v107, v19, -v5
	v_add_nc_u32_e32 v19, 0xfffffc10, v25
	v_and_or_b32 v11, 0xffe, v24, v11
	v_sub_nc_u32_e32 v24, 0x3f1, v25
	v_cndmask_b32_e64 v20, v22, v20, s0
	v_cvt_f32_f16_e32 v5, v5
	v_or_b32_e32 v22, 0x1000, v11
	v_med3_i32 v24, v24, 0, 13
	v_and_b32_e32 v2, 7, v20
	v_mul_f64 v[9:10], v[13:14], s[4:5]
	v_add_co_u32 v13, s0, v17, s6
	v_lshrrev_b32_e32 v21, v24, v22
	v_add_co_ci_u32_e64 v14, s0, s7, v18, s0
	v_cmp_lt_i32_e64 s0, 5, v2
	v_cmp_eq_u32_e64 s1, 3, v2
	v_lshlrev_b32_e32 v17, v24, v21
	v_lshrrev_b32_e32 v2, 2, v20
	global_store_dword v[13:14], v0, off
	s_or_b32 s0, s1, s0
	v_cmp_ne_u32_e64 s2, v17, v22
	v_add_co_ci_u32_e64 v2, s0, 0, v2, s0
	v_cmp_ne_u32_e64 s0, 0, v15
	v_cndmask_b32_e64 v17, 0, 1, s2
	v_cndmask_b32_e64 v15, 0, 1, s0
	v_cmp_gt_i32_e64 s0, 1, v19
	v_or_b32_e32 v20, v21, v17
	v_cvt_f64_f32_e32 v[17:18], v5
	v_lshl_or_b32 v21, v19, 12, v11
	v_and_or_b32 v9, 0x1ff, v10, v9
	v_lshl_or_b32 v15, v15, 9, 0x7c00
	v_bfe_u32 v22, v10, 20, 11
	v_cndmask_b32_e64 v5, v21, v20, s0
	v_cmp_gt_i32_e64 s0, 31, v23
	v_lshrrev_b32_e32 v21, 8, v10
	v_lshrrev_b32_e32 v10, 16, v10
	v_and_b32_e32 v20, 7, v5
	v_cndmask_b32_e64 v2, 0x7c00, v2, s0
	v_cmp_ne_u32_e64 s0, 0, v9
	v_lshrrev_b32_e32 v5, 2, v5
	v_cmp_eq_u32_e64 s1, 3, v20
	v_cndmask_b32_e64 v9, 0, 1, s0
	v_cmp_eq_u32_e64 s0, 0x40f, v23
	v_mul_f64 v[17:18], v[17:18], s[4:5]
	v_and_or_b32 v9, 0xffe, v21, v9
	v_cndmask_b32_e64 v2, v2, v15, s0
	v_cmp_lt_i32_e64 s0, 5, v20
	v_sub_nc_u32_e32 v15, 0x3f1, v22
	v_lshrrev_b32_e32 v20, 16, v1
	v_or_b32_e32 v21, 0x1000, v9
	v_and_or_b32 v2, 0x8000, v16, v2
	s_or_b32 s0, s1, s0
	v_med3_i32 v15, v15, 0, 13
	v_add_co_ci_u32_e64 v5, s0, 0, v5, s0
	v_cmp_ne_u32_e64 s0, 0, v11
	v_mul_f16_sdwa v23, v106, v20 dst_sel:DWORD dst_unused:UNUSED_PAD src0_sel:WORD_1 src1_sel:DWORD
	v_lshrrev_b32_e32 v24, v15, v21
	v_and_b32_e32 v2, 0xffff, v2
	v_cndmask_b32_e64 v11, 0, 1, s0
	v_cmp_gt_i32_e64 s0, 31, v19
	v_lshlrev_b32_e32 v15, v15, v24
	v_fmac_f16_e32 v23, v106, v1
	v_mul_f16_sdwa v1, v106, v1 dst_sel:DWORD dst_unused:UNUSED_PAD src0_sel:WORD_1 src1_sel:DWORD
	v_lshl_or_b32 v11, v11, 9, 0x7c00
	v_cndmask_b32_e64 v5, 0x7c00, v5, s0
	v_cmp_eq_u32_e64 s0, 0x40f, v19
	v_and_or_b32 v17, 0x1ff, v18, v17
	v_cvt_f32_f16_e32 v23, v23
	v_lshrrev_b32_e32 v19, 16, v12
	v_fma_f16 v1, v106, v20, -v1
	v_cndmask_b32_e64 v5, v5, v11, s0
	v_cmp_ne_u32_e64 s0, v15, v21
	v_add_nc_u32_e32 v21, 0xfffffc10, v22
	v_cvt_f64_f32_e32 v[11:12], v23
	v_bfe_u32 v22, v18, 20, 11
	v_and_or_b32 v5, 0x8000, v19, v5
	v_cndmask_b32_e64 v15, 0, 1, s0
	v_cmp_ne_u32_e64 s0, 0, v17
	v_lshl_or_b32 v16, v21, 12, v9
	v_lshrrev_b32_e32 v19, 8, v18
	v_lshl_or_b32 v0, v5, 16, v2
	v_or_b32_e32 v15, v24, v15
	v_cndmask_b32_e64 v17, 0, 1, s0
	v_cmp_gt_i32_e64 s0, 1, v21
	v_lshrrev_b32_e32 v20, 16, v4
	v_lshrrev_b32_e32 v18, 16, v18
	v_cndmask_b32_e64 v15, v16, v15, s0
	v_and_or_b32 v16, 0xffe, v19, v17
	v_sub_nc_u32_e32 v17, 0x3f1, v22
	v_add_co_u32 v13, s0, v13, s6
	v_and_b32_e32 v2, 7, v15
	v_or_b32_e32 v5, 0x1000, v16
	v_med3_i32 v17, v17, 0, 13
	v_add_co_ci_u32_e64 v14, s0, s7, v14, s0
	v_cmp_lt_i32_e64 s0, 5, v2
	v_cmp_eq_u32_e64 s1, 3, v2
	v_lshrrev_b32_e32 v19, v17, v5
	v_mul_f64 v[11:12], v[11:12], s[4:5]
	global_store_dword v[13:14], v0, off
	v_lshrrev_b32_e32 v0, 2, v15
	s_or_b32 s0, s1, s0
	v_lshlrev_b32_e32 v2, v17, v19
	v_add_co_ci_u32_e64 v15, s0, 0, v0, s0
	v_cmp_ne_u32_e64 s0, v2, v5
	v_cvt_f32_f16_e32 v0, v1
	v_add_nc_u32_e32 v5, 0xfffffc10, v22
	v_mul_f16_sdwa v22, v105, v20 dst_sel:DWORD dst_unused:UNUSED_PAD src0_sel:WORD_1 src1_sel:DWORD
	v_cndmask_b32_e64 v2, 0, 1, s0
	v_cmp_ne_u32_e64 s0, 0, v9
	v_cvt_f64_f32_e32 v[0:1], v0
	v_lshl_or_b32 v17, v5, 12, v16
	v_fmac_f16_e32 v22, v105, v4
	v_or_b32_e32 v2, v19, v2
	v_cndmask_b32_e64 v9, 0, 1, s0
	v_cmp_gt_i32_e64 s0, 31, v21
	v_and_or_b32 v11, 0x1ff, v12, v11
	v_bfe_u32 v19, v12, 20, 11
	v_mul_f16_sdwa v4, v105, v4 dst_sel:DWORD dst_unused:UNUSED_PAD src0_sel:WORD_1 src1_sel:DWORD
	v_lshl_or_b32 v9, v9, 9, 0x7c00
	v_cndmask_b32_e64 v15, 0x7c00, v15, s0
	v_cmp_gt_i32_e64 s0, 1, v5
	v_cndmask_b32_e64 v2, v17, v2, s0
	v_cmp_ne_u32_e64 s0, 0, v11
	v_lshrrev_b32_e32 v17, 8, v12
	v_lshrrev_b32_e32 v12, 16, v12
	v_cndmask_b32_e64 v11, 0, 1, s0
	v_cmp_eq_u32_e64 s0, 0x40f, v21
	v_mul_f64 v[0:1], v[0:1], s[4:5]
	v_and_or_b32 v11, 0xffe, v17, v11
	v_cndmask_b32_e64 v9, v15, v9, s0
	v_and_b32_e32 v15, 7, v2
	v_sub_nc_u32_e32 v17, 0x3f1, v19
	v_lshrrev_b32_e32 v2, 2, v2
	v_or_b32_e32 v21, 0x1000, v11
	v_add_nc_u32_e32 v19, 0xfffffc10, v19
	v_cmp_lt_i32_e64 s0, 5, v15
	v_cmp_eq_u32_e64 s1, 3, v15
	v_med3_i32 v17, v17, 0, 13
	v_and_or_b32 v15, 0x8000, v10, v9
	v_cvt_f32_f16_e32 v10, v22
	s_or_b32 s0, s1, s0
	v_lshrrev_b32_e32 v23, v17, v21
	v_add_co_ci_u32_e64 v2, s0, 0, v2, s0
	v_cmp_ne_u32_e64 s0, 0, v16
	v_and_b32_e32 v15, 0xffff, v15
	v_lshlrev_b32_e32 v16, v17, v23
	v_and_or_b32 v0, 0x1ff, v1, v0
	v_cndmask_b32_e64 v9, 0, 1, s0
	v_cmp_gt_i32_e64 s0, 31, v5
	v_lshl_or_b32 v17, v9, 9, 0x7c00
	v_cndmask_b32_e64 v2, 0x7c00, v2, s0
	v_cmp_ne_u32_e64 s0, v16, v21
	v_cvt_f64_f32_e32 v[9:10], v10
	v_bfe_u32 v21, v1, 20, 11
	v_cndmask_b32_e64 v16, 0, 1, s0
	v_cmp_eq_u32_e64 s0, 0x40f, v5
	v_or_b32_e32 v5, v23, v16
	v_cndmask_b32_e64 v2, v2, v17, s0
	v_cmp_ne_u32_e64 s0, 0, v0
	v_lshl_or_b32 v16, v19, 12, v11
	v_lshrrev_b32_e32 v17, 8, v1
	v_and_or_b32 v2, 0x8000, v18, v2
	v_cndmask_b32_e64 v0, 0, 1, s0
	v_cmp_gt_i32_e64 s0, 1, v19
	v_lshl_or_b32 v15, v2, 16, v15
	v_and_or_b32 v0, 0xffe, v17, v0
	v_cndmask_b32_e64 v16, v16, v5, s0
	v_sub_nc_u32_e32 v5, 0x3f1, v21
	v_mul_f64 v[9:10], v[9:10], s[4:5]
	v_or_b32_e32 v18, 0x1000, v0
	v_and_b32_e32 v17, 7, v16
	v_med3_i32 v22, v5, 0, 13
	v_cmp_lt_i32_e64 s0, 5, v17
	v_lshrrev_b32_e32 v2, v22, v18
	v_cmp_eq_u32_e64 s1, 3, v17
	v_fma_f16 v17, v105, v20, -v4
	v_add_co_u32 v4, s2, v13, s6
	v_lshrrev_b32_e32 v13, 2, v16
	v_add_co_ci_u32_e64 v5, s2, s7, v14, s2
	v_lshlrev_b32_e32 v14, v22, v2
	s_or_b32 s0, s1, s0
	v_cvt_f32_f16_e32 v16, v17
	v_add_co_ci_u32_e64 v17, s0, 0, v13, s0
	v_cmp_ne_u32_e64 s0, v14, v18
	v_and_or_b32 v9, 0x1ff, v10, v9
	v_cvt_f64_f32_e32 v[13:14], v16
	v_add_nc_u32_e32 v16, 0xfffffc10, v21
	v_lshrrev_b32_e32 v20, 8, v10
	v_cndmask_b32_e64 v18, 0, 1, s0
	v_cmp_gt_i32_e64 s0, 31, v19
	v_bfe_u32 v21, v10, 20, 11
	v_or_b32_e32 v2, v2, v18
	v_cndmask_b32_e64 v17, 0x7c00, v17, s0
	v_cmp_ne_u32_e64 s0, 0, v9
	v_lshl_or_b32 v18, v16, 12, v0
	v_cndmask_b32_e64 v9, 0, 1, s0
	v_cmp_ne_u32_e64 s0, 0, v11
	v_and_or_b32 v9, 0xffe, v20, v9
	v_cndmask_b32_e64 v11, 0, 1, s0
	v_cmp_gt_i32_e64 s0, 1, v16
	v_lshrrev_b32_e32 v20, 16, v3
	v_mul_f64 v[13:14], v[13:14], s[4:5]
	v_or_b32_e32 v23, 0x1000, v9
	v_lshl_or_b32 v11, v11, 9, 0x7c00
	v_cndmask_b32_e64 v2, v18, v2, s0
	v_sub_nc_u32_e32 v18, 0x3f1, v21
	v_cmp_eq_u32_e64 s0, 0x40f, v19
	v_mul_f16_sdwa v24, v104, v20 dst_sel:DWORD dst_unused:UNUSED_PAD src0_sel:WORD_1 src1_sel:DWORD
	v_add_nc_u32_e32 v21, 0xfffffc10, v21
	v_and_b32_e32 v22, 7, v2
	v_med3_i32 v18, v18, 0, 13
	v_cndmask_b32_e64 v11, v17, v11, s0
	v_lshrrev_b32_e32 v2, 2, v2
	v_fmac_f16_e32 v24, v104, v3
	v_cmp_lt_i32_e64 s0, 5, v22
	v_lshrrev_b32_e32 v17, v18, v23
	v_cmp_eq_u32_e64 s1, 3, v22
	v_and_or_b32 v19, 0x8000, v12, v11
	v_cvt_f32_f16_e32 v12, v24
	v_mul_f16_sdwa v3, v104, v3 dst_sel:DWORD dst_unused:UNUSED_PAD src0_sel:WORD_1 src1_sel:DWORD
	v_lshlrev_b32_e32 v11, v18, v17
	s_or_b32 s0, s1, s0
	v_add_co_ci_u32_e64 v2, s0, 0, v2, s0
	v_cmp_ne_u32_e64 s0, v11, v23
	v_cvt_f64_f32_e32 v[11:12], v12
	v_and_or_b32 v13, 0x1ff, v14, v13
	v_bfe_u32 v22, v14, 20, 11
	v_fma_f16 v3, v104, v20, -v3
	v_cndmask_b32_e64 v18, 0, 1, s0
	v_cmp_ne_u32_e64 s0, 0, v0
	v_lshrrev_b32_e32 v20, 16, v10
	v_or_b32_e32 v17, v17, v18
	v_cndmask_b32_e64 v0, 0, 1, s0
	v_cmp_gt_i32_e64 s0, 31, v16
	v_lshl_or_b32 v18, v21, 12, v9
	v_lshl_or_b32 v0, v0, 9, 0x7c00
	v_cndmask_b32_e64 v2, 0x7c00, v2, s0
	v_cmp_gt_i32_e64 s0, 1, v21
	v_cndmask_b32_e64 v17, v18, v17, s0
	v_cmp_ne_u32_e64 s0, 0, v13
	v_lshrrev_b32_e32 v18, 8, v14
	v_and_b32_e32 v23, 7, v17
	v_cndmask_b32_e64 v13, 0, 1, s0
	v_cmp_eq_u32_e64 s0, 0x40f, v16
	v_sub_nc_u32_e32 v16, 0x3f1, v22
	v_cmp_eq_u32_e64 s1, 3, v23
	v_and_or_b32 v13, 0xffe, v18, v13
	v_cndmask_b32_e64 v2, v2, v0, s0
	v_cmp_lt_i32_e64 s0, 5, v23
	v_lshrrev_b32_e32 v18, 16, v1
	v_mul_f64 v[0:1], v[11:12], s[4:5]
	v_med3_i32 v12, v16, 0, 13
	v_lshrrev_b32_e32 v16, 2, v17
	v_or_b32_e32 v11, 0x1000, v13
	s_or_b32 s0, s1, s0
	v_and_or_b32 v2, 0x8000, v18, v2
	v_and_b32_e32 v17, 0xffff, v19
	v_add_co_ci_u32_e64 v16, s0, 0, v16, s0
	v_lshrrev_b32_e32 v18, v12, v11
	v_cmp_ne_u32_e64 s0, 0, v9
	v_lshl_or_b32 v17, v2, 16, v17
	v_lshlrev_b32_e32 v2, v12, v18
	v_cndmask_b32_e64 v9, 0, 1, s0
	v_cmp_gt_i32_e64 s0, 31, v21
	v_lshl_or_b32 v9, v9, 9, 0x7c00
	v_cndmask_b32_e64 v12, 0x7c00, v16, s0
	v_cmp_ne_u32_e64 s0, v2, v11
	v_and_or_b32 v0, 0x1ff, v1, v0
	v_add_nc_u32_e32 v16, 0xfffffc10, v22
	v_bfe_u32 v19, v1, 20, 11
	v_cndmask_b32_e64 v2, 0, 1, s0
	v_cmp_eq_u32_e64 s0, 0x40f, v21
	v_cndmask_b32_e64 v11, v12, v9, s0
	v_cmp_ne_u32_e64 s0, 0, v0
	v_or_b32_e32 v9, v18, v2
	v_cvt_f32_f16_e32 v2, v3
	v_lshl_or_b32 v12, v16, 12, v13
	v_lshrrev_b32_e32 v18, 8, v1
	v_cndmask_b32_e64 v0, 0, 1, s0
	v_cmp_gt_i32_e64 s0, 1, v16
	v_cvt_f64_f32_e32 v[2:3], v2
	v_and_or_b32 v20, 0x8000, v20, v11
	v_lshrrev_b32_e32 v1, 16, v1
	v_and_or_b32 v0, 0xffe, v18, v0
	v_cndmask_b32_e64 v12, v12, v9, s0
	v_sub_nc_u32_e32 v9, 0x3f1, v19
	v_lshrrev_b32_e32 v18, 16, v6
	v_add_nc_u32_e32 v19, 0xfffffc10, v19
	v_or_b32_e32 v22, 0x1000, v0
	v_and_b32_e32 v21, 7, v12
	v_med3_i32 v23, v9, 0, 13
	v_mul_f16_sdwa v24, v103, v18 dst_sel:DWORD dst_unused:UNUSED_PAD src0_sel:WORD_1 src1_sel:DWORD
	v_add_co_u32 v9, s0, v4, s10
	v_add_co_ci_u32_e64 v10, s0, s3, v5, s0
	v_lshrrev_b32_e32 v25, v23, v22
	v_fmac_f16_e32 v24, v103, v6
	v_cmp_lt_i32_e64 s0, 5, v21
	v_cmp_eq_u32_e64 s1, 3, v21
	v_lshrrev_b32_e32 v11, 2, v12
	v_lshlrev_b32_e32 v21, v23, v25
	v_cvt_f32_f16_e32 v12, v24
	v_mul_f64 v[2:3], v[2:3], s[4:5]
	s_or_b32 s0, s1, s0
	v_mul_f16_sdwa v6, v103, v6 dst_sel:DWORD dst_unused:UNUSED_PAD src0_sel:WORD_1 src1_sel:DWORD
	v_add_co_ci_u32_e64 v23, s0, 0, v11, s0
	v_cmp_ne_u32_e64 s0, v21, v22
	v_cvt_f64_f32_e32 v[11:12], v12
	v_lshl_or_b32 v22, v19, 12, v0
	v_fma_f16 v6, v103, v18, -v6
	v_cndmask_b32_e64 v21, 0, 1, s0
	v_cmp_ne_u32_e64 s0, 0, v13
	v_cvt_f32_f16_e32 v6, v6
	v_or_b32_e32 v21, v25, v21
	v_cndmask_b32_e64 v13, 0, 1, s0
	v_cmp_gt_i32_e64 s0, 31, v16
	v_lshl_or_b32 v13, v13, 9, 0x7c00
	v_cndmask_b32_e64 v18, 0x7c00, v23, s0
	v_cmp_gt_i32_e64 s0, 1, v19
	v_and_or_b32 v2, 0x1ff, v3, v2
	v_bfe_u32 v23, v3, 20, 11
	v_cndmask_b32_e64 v21, v22, v21, s0
	v_cmp_eq_u32_e64 s0, 0x40f, v16
	v_mul_f64 v[11:12], v[11:12], s[4:5]
	v_lshrrev_b32_e32 v22, 8, v3
	v_lshrrev_b32_e32 v3, 16, v3
	v_cndmask_b32_e64 v16, v18, v13, s0
	v_lshrrev_b32_e32 v18, 16, v14
	v_cvt_f64_f32_e32 v[13:14], v6
	v_cmp_ne_u32_e64 s0, 0, v2
	v_and_b32_e32 v6, 7, v21
	v_and_or_b32 v16, 0x8000, v18, v16
	v_and_b32_e32 v18, 0xffff, v20
	v_cndmask_b32_e64 v2, 0, 1, s0
	v_cmp_lt_i32_e64 s0, 5, v6
	v_cmp_eq_u32_e64 s1, 3, v6
	v_sub_nc_u32_e32 v20, 0x3f1, v23
	v_lshl_or_b32 v6, v16, 16, v18
	v_lshrrev_b32_e32 v16, 2, v21
	v_and_or_b32 v2, 0xffe, v22, v2
	s_or_b32 s0, s1, s0
	v_med3_i32 v20, v20, 0, 13
	v_add_co_ci_u32_e64 v16, s0, 0, v16, s0
	v_or_b32_e32 v18, 0x1000, v2
	v_cmp_ne_u32_e64 s0, 0, v0
	v_and_or_b32 v11, 0x1ff, v12, v11
	v_lshrrev_b32_e32 v22, 8, v12
	v_mul_f64 v[13:14], v[13:14], s[4:5]
	v_lshrrev_b32_e32 v21, v20, v18
	v_cndmask_b32_e64 v0, 0, 1, s0
	v_cmp_gt_i32_e64 s0, 31, v19
	v_bfe_u32 v24, v12, 20, 11
	v_lshrrev_b32_e32 v12, 16, v12
	v_lshlrev_b32_e32 v20, v20, v21
	v_lshl_or_b32 v0, v0, 9, 0x7c00
	v_cndmask_b32_e64 v16, 0x7c00, v16, s0
	v_cmp_ne_u32_e64 s0, 0, v11
	v_cndmask_b32_e64 v11, 0, 1, s0
	v_cmp_ne_u32_e64 s0, v20, v18
	v_add_nc_u32_e32 v20, 0xfffffc10, v23
	v_and_or_b32 v11, 0xffe, v22, v11
	v_cndmask_b32_e64 v18, 0, 1, s0
	v_sub_nc_u32_e32 v22, 0x3f1, v24
	v_cmp_eq_u32_e64 s0, 0x40f, v19
	v_and_or_b32 v13, 0x1ff, v14, v13
	v_or_b32_e32 v19, 0x1000, v11
	v_bfe_u32 v23, v14, 20, 11
	v_cndmask_b32_e64 v0, v16, v0, s0
	v_or_b32_e32 v16, v21, v18
	v_lshl_or_b32 v18, v20, 12, v2
	v_med3_i32 v21, v22, 0, 13
	v_cmp_gt_i32_e64 s0, 1, v20
	v_lshrrev_b32_e32 v22, 8, v14
	v_and_or_b32 v0, 0x8000, v1, v0
	v_cndmask_b32_e64 v16, v18, v16, s0
	v_lshrrev_b32_e32 v18, v21, v19
	v_cmp_ne_u32_e64 s0, 0, v13
	v_and_b32_e32 v0, 0xffff, v0
	v_and_b32_e32 v25, 7, v16
	v_lshlrev_b32_e32 v21, v21, v18
	v_cndmask_b32_e64 v13, 0, 1, s0
	v_lshrrev_b32_e32 v16, 2, v16
	v_cmp_lt_i32_e64 s0, 5, v25
	v_cmp_ne_u32_e64 s1, v21, v19
	v_and_or_b32 v1, 0xffe, v22, v13
	v_sub_nc_u32_e32 v13, 0x3f1, v23
	v_add_nc_u32_e32 v22, 0xfffffc10, v24
	v_cndmask_b32_e64 v19, 0, 1, s1
	v_cmp_eq_u32_e64 s1, 3, v25
	v_or_b32_e32 v21, 0x1000, v1
	v_med3_i32 v13, v13, 0, 13
	v_lshl_or_b32 v24, v22, 12, v11
	v_or_b32_e32 v18, v18, v19
	s_or_b32 s0, s1, s0
	v_add_co_ci_u32_e64 v16, s0, 0, v16, s0
	v_lshrrev_b32_e32 v19, v13, v21
	v_cmp_gt_i32_e64 s0, 1, v22
	v_lshlrev_b32_e32 v13, v13, v19
	v_cndmask_b32_e64 v18, v24, v18, s0
	v_cmp_ne_u32_e64 s0, 0, v2
	v_cndmask_b32_e64 v2, 0, 1, s0
	v_cmp_ne_u32_e64 s0, v13, v21
	v_add_nc_u32_e32 v21, 0xfffffc10, v23
	v_and_b32_e32 v23, 7, v18
	v_lshl_or_b32 v2, v2, 9, 0x7c00
	v_cndmask_b32_e64 v13, 0, 1, s0
	v_cmp_gt_i32_e64 s0, 31, v20
	v_cmp_gt_i32_e64 s2, 1, v21
	v_cmp_eq_u32_e64 s1, 3, v23
	v_or_b32_e32 v13, v19, v13
	v_lshl_or_b32 v19, v21, 12, v1
	v_cndmask_b32_e64 v16, 0x7c00, v16, s0
	v_cmp_lt_i32_e64 s0, 5, v23
	v_cndmask_b32_e64 v13, v19, v13, s2
	v_cmp_eq_u32_e64 s2, 0x40f, v20
	s_or_b32 s0, s1, s0
	v_cndmask_b32_e64 v2, v16, v2, s2
	v_lshrrev_b32_e32 v16, 2, v18
	v_and_b32_e32 v18, 7, v13
	v_lshrrev_b32_e32 v13, 2, v13
	v_cmp_gt_i32_e64 s2, 31, v22
	v_add_co_ci_u32_e64 v16, s0, 0, v16, s0
	v_cmp_ne_u32_e64 s0, 0, v11
	v_cmp_eq_u32_e64 s1, 3, v18
	v_cndmask_b32_e64 v16, 0x7c00, v16, s2
	v_cndmask_b32_e64 v11, 0, 1, s0
	v_cmp_lt_i32_e64 s0, 5, v18
	v_lshl_or_b32 v11, v11, 9, 0x7c00
	s_or_b32 s0, s1, s0
	v_add_co_ci_u32_e64 v13, s0, 0, v13, s0
	v_cmp_ne_u32_e64 s0, 0, v1
	v_cndmask_b32_e64 v1, 0, 1, s0
	v_cmp_eq_u32_e64 s0, 0x40f, v22
	v_lshl_or_b32 v1, v1, 9, 0x7c00
	v_cndmask_b32_e64 v11, v16, v11, s0
	v_cmp_gt_i32_e64 s0, 31, v21
	v_and_or_b32 v16, 0x8000, v3, v2
	v_and_or_b32 v11, 0x8000, v12, v11
	v_cndmask_b32_e64 v13, 0x7c00, v13, s0
	v_cmp_eq_u32_e64 s0, 0x40f, v21
	v_lshrrev_b32_e32 v12, 16, v14
	v_cndmask_b32_e64 v1, v13, v1, s0
	v_add_co_u32 v2, s0, v9, s6
	v_add_co_ci_u32_e64 v3, s0, s7, v10, s0
	v_lshl_or_b32 v13, v16, 16, v0
	v_and_or_b32 v0, 0x8000, v12, v1
	v_and_b32_e32 v1, 0xffff, v11
	v_add_co_u32 v11, s0, v2, s6
	v_add_co_ci_u32_e64 v12, s0, s7, v3, s0
	v_lshl_or_b32 v14, v0, 16, v1
	v_add_co_u32 v0, s0, v11, s6
	v_add_co_ci_u32_e64 v1, s0, s7, v12, s0
	global_store_dword v[4:5], v15, off
	global_store_dword v[9:10], v17, off
	;; [unrolled: 1-line block ×5, first 2 shown]
	s_and_b32 exec_lo, exec_lo, vcc_lo
	s_cbranch_execz .LBB0_25
; %bb.24:
	global_load_dword v2, v[54:55], off offset:1792
	ds_read_b32 v3, v102 offset:1792
	ds_read_b32 v6, v102 offset:3752
	;; [unrolled: 1-line block ×4, first 2 shown]
	v_mad_u64_u32 v[0:1], null, 0xfffff190, s8, v[0:1]
	s_waitcnt lgkmcnt(3)
	v_lshrrev_b32_e32 v4, 16, v3
	s_waitcnt vmcnt(0)
	v_mul_f16_sdwa v5, v4, v2 dst_sel:DWORD dst_unused:UNUSED_PAD src0_sel:DWORD src1_sel:WORD_1
	v_mul_f16_sdwa v9, v3, v2 dst_sel:DWORD dst_unused:UNUSED_PAD src0_sel:DWORD src1_sel:WORD_1
	v_fmac_f16_e32 v5, v3, v2
	v_fma_f16 v2, v2, v4, -v9
	v_cvt_f32_f16_e32 v3, v5
	v_cvt_f32_f16_e32 v4, v2
	v_cvt_f64_f32_e32 v[2:3], v3
	v_cvt_f64_f32_e32 v[4:5], v4
	v_mul_f64 v[2:3], v[2:3], s[4:5]
	v_mul_f64 v[4:5], v[4:5], s[4:5]
	v_and_or_b32 v2, 0x1ff, v3, v2
	v_and_or_b32 v4, 0x1ff, v5, v4
	v_lshrrev_b32_e32 v9, 8, v3
	v_bfe_u32 v11, v3, 20, 11
	v_bfe_u32 v14, v5, 20, 11
	v_cmp_ne_u32_e32 vcc_lo, 0, v2
	v_lshrrev_b32_e32 v10, 8, v5
	v_lshrrev_b32_e32 v5, 16, v5
	v_sub_nc_u32_e32 v15, 0x3f1, v11
	v_sub_nc_u32_e32 v16, 0x3f1, v14
	v_cndmask_b32_e64 v2, 0, 1, vcc_lo
	v_cmp_ne_u32_e32 vcc_lo, 0, v4
	v_add_nc_u32_e32 v14, 0xfffffc10, v14
	v_and_or_b32 v17, 0xffe, v9, v2
	v_cndmask_b32_e64 v4, 0, 1, vcc_lo
	v_med3_i32 v2, v15, 0, 13
	v_med3_i32 v15, v16, 0, 13
	v_or_b32_e32 v16, 0x1000, v17
	v_and_or_b32 v4, 0xffe, v10, v4
	v_mad_u64_u32 v[9:10], null, s8, v56, 0
	v_lshrrev_b32_e32 v19, v2, v16
	v_or_b32_e32 v18, 0x1000, v4
	v_lshlrev_b32_e32 v21, v2, v19
	v_lshrrev_b32_e32 v20, v15, v18
	v_mov_b32_e32 v2, v10
	v_cmp_ne_u32_e32 vcc_lo, v21, v16
	v_lshlrev_b32_e32 v10, v15, v20
	v_add_nc_u32_e32 v15, 0xfffffc10, v11
	v_cndmask_b32_e64 v16, 0, 1, vcc_lo
	v_cmp_ne_u32_e32 vcc_lo, v10, v18
	v_mad_u64_u32 v[10:11], null, s9, v56, v[2:3]
	v_lshl_or_b32 v2, v15, 12, v17
	v_or_b32_e32 v11, v19, v16
	v_cndmask_b32_e64 v18, 0, 1, vcc_lo
	v_cmp_gt_i32_e32 vcc_lo, 1, v15
	v_lshl_or_b32 v16, v14, 12, v4
	v_lshrrev_b32_e32 v3, 16, v3
	v_or_b32_e32 v18, v20, v18
	v_cndmask_b32_e32 v2, v2, v11, vcc_lo
	v_cmp_gt_i32_e32 vcc_lo, 1, v14
	v_cndmask_b32_e32 v11, v16, v18, vcc_lo
	v_cmp_ne_u32_e32 vcc_lo, 0, v17
	v_and_b32_e32 v17, 7, v2
	v_lshrrev_b32_e32 v2, 2, v2
	v_and_b32_e32 v18, 7, v11
	v_cndmask_b32_e64 v16, 0, 1, vcc_lo
	v_cmp_ne_u32_e32 vcc_lo, 0, v4
	v_cmp_eq_u32_e64 s0, 3, v17
	v_lshrrev_b32_e32 v11, 2, v11
	v_cmp_lt_i32_e64 s1, 5, v18
	v_cmp_eq_u32_e64 s2, 3, v18
	v_cndmask_b32_e64 v4, 0, 1, vcc_lo
	v_cmp_lt_i32_e32 vcc_lo, 5, v17
	v_lshl_or_b32 v16, v16, 9, 0x7c00
	v_lshl_or_b32 v4, v4, 9, 0x7c00
	s_or_b32 vcc_lo, s0, vcc_lo
	v_add_co_ci_u32_e32 v2, vcc_lo, 0, v2, vcc_lo
	s_or_b32 vcc_lo, s2, s1
	v_add_co_ci_u32_e32 v11, vcc_lo, 0, v11, vcc_lo
	v_cmp_gt_i32_e32 vcc_lo, 31, v15
	v_cndmask_b32_e32 v2, 0x7c00, v2, vcc_lo
	v_cmp_gt_i32_e32 vcc_lo, 31, v14
	v_cndmask_b32_e32 v11, 0x7c00, v11, vcc_lo
	v_cmp_eq_u32_e32 vcc_lo, 0x40f, v15
	v_cndmask_b32_e32 v2, v2, v16, vcc_lo
	v_cmp_eq_u32_e32 vcc_lo, 0x40f, v14
	v_cndmask_b32_e32 v4, v11, v4, vcc_lo
	v_and_or_b32 v11, 0x8000, v3, v2
	v_lshlrev_b64 v[2:3], 2, v[9:10]
	v_and_or_b32 v4, 0x8000, v5, v4
	v_and_b32_e32 v5, 0xffff, v11
	v_add_co_u32 v2, vcc_lo, v7, v2
	v_add_co_ci_u32_e32 v3, vcc_lo, v8, v3, vcc_lo
	v_lshl_or_b32 v4, v4, 16, v5
	global_store_dword v[2:3], v4, off
	global_load_dword v2, v[50:51], off offset:1704
	s_waitcnt lgkmcnt(2)
	v_lshrrev_b32_e32 v3, 16, v6
	s_waitcnt vmcnt(0)
	v_mul_f16_sdwa v4, v3, v2 dst_sel:DWORD dst_unused:UNUSED_PAD src0_sel:DWORD src1_sel:WORD_1
	v_mul_f16_sdwa v5, v6, v2 dst_sel:DWORD dst_unused:UNUSED_PAD src0_sel:DWORD src1_sel:WORD_1
	v_fmac_f16_e32 v4, v6, v2
	v_fma_f16 v2, v2, v3, -v5
	v_cvt_f32_f16_e32 v3, v4
	v_cvt_f32_f16_e32 v4, v2
	v_cvt_f64_f32_e32 v[2:3], v3
	v_cvt_f64_f32_e32 v[4:5], v4
	v_mul_f64 v[2:3], v[2:3], s[4:5]
	v_mul_f64 v[4:5], v[4:5], s[4:5]
	v_and_or_b32 v2, 0x1ff, v3, v2
	v_and_or_b32 v4, 0x1ff, v5, v4
	v_lshrrev_b32_e32 v6, 8, v3
	v_bfe_u32 v7, v3, 20, 11
	v_lshrrev_b32_e32 v8, 8, v5
	v_cmp_ne_u32_e32 vcc_lo, 0, v2
	v_bfe_u32 v9, v5, 20, 11
	v_lshrrev_b32_e32 v3, 16, v3
	v_sub_nc_u32_e32 v10, 0x3f1, v7
	v_add_nc_u32_e32 v7, 0xfffffc10, v7
	v_cndmask_b32_e64 v2, 0, 1, vcc_lo
	v_cmp_ne_u32_e32 vcc_lo, 0, v4
	v_lshrrev_b32_e32 v5, 16, v5
	v_and_or_b32 v2, 0xffe, v6, v2
	v_cndmask_b32_e64 v4, 0, 1, vcc_lo
	v_sub_nc_u32_e32 v6, 0x3f1, v9
	v_add_nc_u32_e32 v9, 0xfffffc10, v9
	v_and_or_b32 v4, 0xffe, v8, v4
	v_med3_i32 v8, v10, 0, 13
	v_or_b32_e32 v10, 0x1000, v2
	v_med3_i32 v6, v6, 0, 13
	v_or_b32_e32 v11, 0x1000, v4
	v_lshrrev_b32_e32 v14, v8, v10
	v_lshrrev_b32_e32 v15, v6, v11
	v_lshlrev_b32_e32 v8, v8, v14
	v_lshlrev_b32_e32 v6, v6, v15
	v_cmp_ne_u32_e32 vcc_lo, v8, v10
	v_lshl_or_b32 v10, v7, 12, v2
	v_cndmask_b32_e64 v8, 0, 1, vcc_lo
	v_cmp_ne_u32_e32 vcc_lo, v6, v11
	v_lshl_or_b32 v11, v9, 12, v4
	v_or_b32_e32 v8, v14, v8
	v_cndmask_b32_e64 v6, 0, 1, vcc_lo
	v_cmp_gt_i32_e32 vcc_lo, 1, v7
	v_or_b32_e32 v6, v15, v6
	v_cndmask_b32_e32 v8, v10, v8, vcc_lo
	v_cmp_gt_i32_e32 vcc_lo, 1, v9
	v_and_b32_e32 v10, 7, v8
	v_cndmask_b32_e32 v6, v11, v6, vcc_lo
	v_cmp_ne_u32_e32 vcc_lo, 0, v2
	v_lshrrev_b32_e32 v8, 2, v8
	v_cmp_eq_u32_e64 s0, 3, v10
	v_and_b32_e32 v11, 7, v6
	v_cndmask_b32_e64 v2, 0, 1, vcc_lo
	v_cmp_ne_u32_e32 vcc_lo, 0, v4
	v_lshrrev_b32_e32 v6, 2, v6
	v_cmp_lt_i32_e64 s1, 5, v11
	v_cmp_eq_u32_e64 s2, 3, v11
	v_cndmask_b32_e64 v4, 0, 1, vcc_lo
	v_cmp_lt_i32_e32 vcc_lo, 5, v10
	v_lshl_or_b32 v2, v2, 9, 0x7c00
	v_lshl_or_b32 v4, v4, 9, 0x7c00
	s_or_b32 vcc_lo, s0, vcc_lo
	s_mul_i32 s0, s9, 0xfffff190
	v_add_co_ci_u32_e32 v8, vcc_lo, 0, v8, vcc_lo
	s_or_b32 vcc_lo, s2, s1
	s_sub_i32 s0, s0, s8
	v_add_co_ci_u32_e32 v6, vcc_lo, 0, v6, vcc_lo
	v_cmp_gt_i32_e32 vcc_lo, 31, v7
	v_add_nc_u32_e32 v1, s0, v1
	v_cndmask_b32_e32 v8, 0x7c00, v8, vcc_lo
	v_cmp_gt_i32_e32 vcc_lo, 31, v9
	v_cndmask_b32_e32 v6, 0x7c00, v6, vcc_lo
	v_cmp_eq_u32_e32 vcc_lo, 0x40f, v7
	v_cndmask_b32_e32 v2, v8, v2, vcc_lo
	v_cmp_eq_u32_e32 vcc_lo, 0x40f, v9
	v_and_or_b32 v2, 0x8000, v3, v2
	v_cndmask_b32_e32 v4, v6, v4, vcc_lo
	v_and_b32_e32 v2, 0xffff, v2
	v_and_or_b32 v3, 0x8000, v5, v4
	v_lshl_or_b32 v2, v3, 16, v2
	s_waitcnt lgkmcnt(1)
	v_lshrrev_b32_e32 v3, 16, v12
	global_store_dword v[0:1], v2, off
	global_load_dword v2, v[48:49], off offset:1616
	s_waitcnt vmcnt(0)
	v_mul_f16_sdwa v4, v3, v2 dst_sel:DWORD dst_unused:UNUSED_PAD src0_sel:DWORD src1_sel:WORD_1
	v_mul_f16_sdwa v5, v12, v2 dst_sel:DWORD dst_unused:UNUSED_PAD src0_sel:DWORD src1_sel:WORD_1
	v_fmac_f16_e32 v4, v12, v2
	v_fma_f16 v2, v2, v3, -v5
	v_cvt_f32_f16_e32 v3, v4
	v_cvt_f32_f16_e32 v4, v2
	v_cvt_f64_f32_e32 v[2:3], v3
	v_cvt_f64_f32_e32 v[4:5], v4
	v_mul_f64 v[2:3], v[2:3], s[4:5]
	v_mul_f64 v[4:5], v[4:5], s[4:5]
	v_and_or_b32 v2, 0x1ff, v3, v2
	v_and_or_b32 v4, 0x1ff, v5, v4
	v_lshrrev_b32_e32 v6, 8, v3
	v_bfe_u32 v7, v3, 20, 11
	v_lshrrev_b32_e32 v8, 8, v5
	v_cmp_ne_u32_e32 vcc_lo, 0, v2
	v_bfe_u32 v9, v5, 20, 11
	v_lshrrev_b32_e32 v3, 16, v3
	v_sub_nc_u32_e32 v10, 0x3f1, v7
	v_add_nc_u32_e32 v7, 0xfffffc10, v7
	v_cndmask_b32_e64 v2, 0, 1, vcc_lo
	v_cmp_ne_u32_e32 vcc_lo, 0, v4
	v_lshrrev_b32_e32 v5, 16, v5
	v_and_or_b32 v2, 0xffe, v6, v2
	v_cndmask_b32_e64 v4, 0, 1, vcc_lo
	v_sub_nc_u32_e32 v6, 0x3f1, v9
	v_add_nc_u32_e32 v9, 0xfffffc10, v9
	v_and_or_b32 v4, 0xffe, v8, v4
	v_med3_i32 v8, v10, 0, 13
	v_or_b32_e32 v10, 0x1000, v2
	v_med3_i32 v6, v6, 0, 13
	v_or_b32_e32 v11, 0x1000, v4
	v_lshrrev_b32_e32 v12, v8, v10
	v_lshrrev_b32_e32 v14, v6, v11
	v_lshlrev_b32_e32 v8, v8, v12
	v_lshlrev_b32_e32 v6, v6, v14
	v_cmp_ne_u32_e32 vcc_lo, v8, v10
	v_lshl_or_b32 v10, v7, 12, v2
	v_cndmask_b32_e64 v8, 0, 1, vcc_lo
	v_cmp_ne_u32_e32 vcc_lo, v6, v11
	v_lshl_or_b32 v11, v9, 12, v4
	v_or_b32_e32 v8, v12, v8
	v_cndmask_b32_e64 v6, 0, 1, vcc_lo
	v_cmp_gt_i32_e32 vcc_lo, 1, v7
	v_or_b32_e32 v6, v14, v6
	v_cndmask_b32_e32 v8, v10, v8, vcc_lo
	v_cmp_gt_i32_e32 vcc_lo, 1, v9
	v_and_b32_e32 v10, 7, v8
	v_cndmask_b32_e32 v6, v11, v6, vcc_lo
	v_cmp_ne_u32_e32 vcc_lo, 0, v2
	v_lshrrev_b32_e32 v8, 2, v8
	v_cmp_eq_u32_e64 s0, 3, v10
	v_and_b32_e32 v11, 7, v6
	v_cndmask_b32_e64 v2, 0, 1, vcc_lo
	v_cmp_ne_u32_e32 vcc_lo, 0, v4
	v_lshrrev_b32_e32 v6, 2, v6
	v_cmp_lt_i32_e64 s1, 5, v11
	v_cmp_eq_u32_e64 s2, 3, v11
	v_cndmask_b32_e64 v4, 0, 1, vcc_lo
	v_cmp_lt_i32_e32 vcc_lo, 5, v10
	v_lshl_or_b32 v2, v2, 9, 0x7c00
	v_lshl_or_b32 v4, v4, 9, 0x7c00
	s_or_b32 vcc_lo, s0, vcc_lo
	v_add_co_ci_u32_e32 v8, vcc_lo, 0, v8, vcc_lo
	s_or_b32 vcc_lo, s2, s1
	v_add_co_ci_u32_e32 v6, vcc_lo, 0, v6, vcc_lo
	v_cmp_gt_i32_e32 vcc_lo, 31, v7
	v_cndmask_b32_e32 v8, 0x7c00, v8, vcc_lo
	v_cmp_gt_i32_e32 vcc_lo, 31, v9
	v_cndmask_b32_e32 v6, 0x7c00, v6, vcc_lo
	v_cmp_eq_u32_e32 vcc_lo, 0x40f, v7
	v_cndmask_b32_e32 v2, v8, v2, vcc_lo
	v_cmp_eq_u32_e32 vcc_lo, 0x40f, v9
	v_and_or_b32 v2, 0x8000, v3, v2
	v_cndmask_b32_e32 v4, v6, v4, vcc_lo
	v_add_co_u32 v0, vcc_lo, v0, s6
	v_add_co_ci_u32_e32 v1, vcc_lo, s7, v1, vcc_lo
	v_and_or_b32 v3, 0x8000, v5, v4
	v_and_b32_e32 v2, 0xffff, v2
	v_lshl_or_b32 v2, v3, 16, v2
	s_waitcnt lgkmcnt(0)
	v_lshrrev_b32_e32 v3, 16, v13
	global_store_dword v[0:1], v2, off
	global_load_dword v2, v[52:53], off offset:1528
	s_waitcnt vmcnt(0)
	v_mul_f16_sdwa v4, v3, v2 dst_sel:DWORD dst_unused:UNUSED_PAD src0_sel:DWORD src1_sel:WORD_1
	v_mul_f16_sdwa v5, v13, v2 dst_sel:DWORD dst_unused:UNUSED_PAD src0_sel:DWORD src1_sel:WORD_1
	v_fmac_f16_e32 v4, v13, v2
	v_fma_f16 v2, v2, v3, -v5
	v_cvt_f32_f16_e32 v3, v4
	v_cvt_f32_f16_e32 v4, v2
	v_cvt_f64_f32_e32 v[2:3], v3
	v_cvt_f64_f32_e32 v[4:5], v4
	v_mul_f64 v[2:3], v[2:3], s[4:5]
	v_mul_f64 v[4:5], v[4:5], s[4:5]
	v_and_or_b32 v2, 0x1ff, v3, v2
	v_and_or_b32 v4, 0x1ff, v5, v4
	v_lshrrev_b32_e32 v6, 8, v3
	v_bfe_u32 v7, v3, 20, 11
	v_lshrrev_b32_e32 v8, 8, v5
	v_cmp_ne_u32_e32 vcc_lo, 0, v2
	v_bfe_u32 v9, v5, 20, 11
	v_lshrrev_b32_e32 v3, 16, v3
	v_sub_nc_u32_e32 v10, 0x3f1, v7
	v_add_nc_u32_e32 v7, 0xfffffc10, v7
	v_cndmask_b32_e64 v2, 0, 1, vcc_lo
	v_cmp_ne_u32_e32 vcc_lo, 0, v4
	v_lshrrev_b32_e32 v5, 16, v5
	v_and_or_b32 v2, 0xffe, v6, v2
	v_cndmask_b32_e64 v4, 0, 1, vcc_lo
	v_sub_nc_u32_e32 v6, 0x3f1, v9
	v_add_nc_u32_e32 v9, 0xfffffc10, v9
	v_and_or_b32 v4, 0xffe, v8, v4
	v_med3_i32 v8, v10, 0, 13
	v_or_b32_e32 v10, 0x1000, v2
	v_med3_i32 v6, v6, 0, 13
	v_or_b32_e32 v11, 0x1000, v4
	v_lshrrev_b32_e32 v12, v8, v10
	v_lshrrev_b32_e32 v13, v6, v11
	v_lshlrev_b32_e32 v8, v8, v12
	v_lshlrev_b32_e32 v6, v6, v13
	v_cmp_ne_u32_e32 vcc_lo, v8, v10
	v_lshl_or_b32 v10, v7, 12, v2
	v_cndmask_b32_e64 v8, 0, 1, vcc_lo
	v_cmp_ne_u32_e32 vcc_lo, v6, v11
	v_lshl_or_b32 v11, v9, 12, v4
	v_or_b32_e32 v8, v12, v8
	v_cndmask_b32_e64 v6, 0, 1, vcc_lo
	v_cmp_gt_i32_e32 vcc_lo, 1, v7
	v_or_b32_e32 v6, v13, v6
	v_cndmask_b32_e32 v8, v10, v8, vcc_lo
	v_cmp_gt_i32_e32 vcc_lo, 1, v9
	v_and_b32_e32 v10, 7, v8
	v_cndmask_b32_e32 v6, v11, v6, vcc_lo
	v_cmp_ne_u32_e32 vcc_lo, 0, v2
	v_lshrrev_b32_e32 v8, 2, v8
	v_cmp_eq_u32_e64 s0, 3, v10
	v_and_b32_e32 v11, 7, v6
	v_cndmask_b32_e64 v2, 0, 1, vcc_lo
	v_cmp_ne_u32_e32 vcc_lo, 0, v4
	v_lshrrev_b32_e32 v6, 2, v6
	v_cmp_lt_i32_e64 s1, 5, v11
	v_cmp_eq_u32_e64 s2, 3, v11
	v_cndmask_b32_e64 v4, 0, 1, vcc_lo
	v_cmp_lt_i32_e32 vcc_lo, 5, v10
	v_lshl_or_b32 v2, v2, 9, 0x7c00
	v_lshl_or_b32 v4, v4, 9, 0x7c00
	s_or_b32 vcc_lo, s0, vcc_lo
	v_add_co_ci_u32_e32 v8, vcc_lo, 0, v8, vcc_lo
	s_or_b32 vcc_lo, s2, s1
	v_add_co_ci_u32_e32 v6, vcc_lo, 0, v6, vcc_lo
	v_cmp_gt_i32_e32 vcc_lo, 31, v7
	v_cndmask_b32_e32 v8, 0x7c00, v8, vcc_lo
	v_cmp_gt_i32_e32 vcc_lo, 31, v9
	v_cndmask_b32_e32 v6, 0x7c00, v6, vcc_lo
	v_cmp_eq_u32_e32 vcc_lo, 0x40f, v7
	v_cndmask_b32_e32 v2, v8, v2, vcc_lo
	v_cmp_eq_u32_e32 vcc_lo, 0x40f, v9
	v_and_or_b32 v2, 0x8000, v3, v2
	v_cndmask_b32_e32 v4, v6, v4, vcc_lo
	v_add_co_u32 v0, vcc_lo, v0, s6
	v_add_co_ci_u32_e32 v1, vcc_lo, s7, v1, vcc_lo
	v_and_or_b32 v3, 0x8000, v5, v4
	v_and_b32_e32 v2, 0xffff, v2
	v_lshl_or_b32 v2, v3, 16, v2
	global_store_dword v[0:1], v2, off
.LBB0_25:
	s_endpgm
	.section	.rodata,"a",@progbits
	.p2align	6, 0x0
	.amdhsa_kernel bluestein_single_back_len1960_dim1_half_op_CI_CI
		.amdhsa_group_segment_fixed_size 7840
		.amdhsa_private_segment_fixed_size 52
		.amdhsa_kernarg_size 104
		.amdhsa_user_sgpr_count 6
		.amdhsa_user_sgpr_private_segment_buffer 1
		.amdhsa_user_sgpr_dispatch_ptr 0
		.amdhsa_user_sgpr_queue_ptr 0
		.amdhsa_user_sgpr_kernarg_segment_ptr 1
		.amdhsa_user_sgpr_dispatch_id 0
		.amdhsa_user_sgpr_flat_scratch_init 0
		.amdhsa_user_sgpr_private_segment_size 0
		.amdhsa_wavefront_size32 1
		.amdhsa_uses_dynamic_stack 0
		.amdhsa_system_sgpr_private_segment_wavefront_offset 1
		.amdhsa_system_sgpr_workgroup_id_x 1
		.amdhsa_system_sgpr_workgroup_id_y 0
		.amdhsa_system_sgpr_workgroup_id_z 0
		.amdhsa_system_sgpr_workgroup_info 0
		.amdhsa_system_vgpr_workitem_id 0
		.amdhsa_next_free_vgpr 256
		.amdhsa_next_free_sgpr 24
		.amdhsa_reserve_vcc 1
		.amdhsa_reserve_flat_scratch 0
		.amdhsa_float_round_mode_32 0
		.amdhsa_float_round_mode_16_64 0
		.amdhsa_float_denorm_mode_32 3
		.amdhsa_float_denorm_mode_16_64 3
		.amdhsa_dx10_clamp 1
		.amdhsa_ieee_mode 1
		.amdhsa_fp16_overflow 0
		.amdhsa_workgroup_processor_mode 1
		.amdhsa_memory_ordered 1
		.amdhsa_forward_progress 0
		.amdhsa_shared_vgpr_count 0
		.amdhsa_exception_fp_ieee_invalid_op 0
		.amdhsa_exception_fp_denorm_src 0
		.amdhsa_exception_fp_ieee_div_zero 0
		.amdhsa_exception_fp_ieee_overflow 0
		.amdhsa_exception_fp_ieee_underflow 0
		.amdhsa_exception_fp_ieee_inexact 0
		.amdhsa_exception_int_div_zero 0
	.end_amdhsa_kernel
	.text
.Lfunc_end0:
	.size	bluestein_single_back_len1960_dim1_half_op_CI_CI, .Lfunc_end0-bluestein_single_back_len1960_dim1_half_op_CI_CI
                                        ; -- End function
	.section	.AMDGPU.csdata,"",@progbits
; Kernel info:
; codeLenInByte = 60724
; NumSgprs: 26
; NumVgprs: 256
; ScratchSize: 52
; MemoryBound: 0
; FloatMode: 240
; IeeeMode: 1
; LDSByteSize: 7840 bytes/workgroup (compile time only)
; SGPRBlocks: 3
; VGPRBlocks: 31
; NumSGPRsForWavesPerEU: 26
; NumVGPRsForWavesPerEU: 256
; Occupancy: 4
; WaveLimiterHint : 1
; COMPUTE_PGM_RSRC2:SCRATCH_EN: 1
; COMPUTE_PGM_RSRC2:USER_SGPR: 6
; COMPUTE_PGM_RSRC2:TRAP_HANDLER: 0
; COMPUTE_PGM_RSRC2:TGID_X_EN: 1
; COMPUTE_PGM_RSRC2:TGID_Y_EN: 0
; COMPUTE_PGM_RSRC2:TGID_Z_EN: 0
; COMPUTE_PGM_RSRC2:TIDIG_COMP_CNT: 0
	.text
	.p2alignl 6, 3214868480
	.fill 48, 4, 3214868480
	.type	__hip_cuid_1165daf26114c340,@object ; @__hip_cuid_1165daf26114c340
	.section	.bss,"aw",@nobits
	.globl	__hip_cuid_1165daf26114c340
__hip_cuid_1165daf26114c340:
	.byte	0                               ; 0x0
	.size	__hip_cuid_1165daf26114c340, 1

	.ident	"AMD clang version 19.0.0git (https://github.com/RadeonOpenCompute/llvm-project roc-6.4.0 25133 c7fe45cf4b819c5991fe208aaa96edf142730f1d)"
	.section	".note.GNU-stack","",@progbits
	.addrsig
	.addrsig_sym __hip_cuid_1165daf26114c340
	.amdgpu_metadata
---
amdhsa.kernels:
  - .args:
      - .actual_access:  read_only
        .address_space:  global
        .offset:         0
        .size:           8
        .value_kind:     global_buffer
      - .actual_access:  read_only
        .address_space:  global
        .offset:         8
        .size:           8
        .value_kind:     global_buffer
      - .actual_access:  read_only
        .address_space:  global
        .offset:         16
        .size:           8
        .value_kind:     global_buffer
      - .actual_access:  read_only
        .address_space:  global
        .offset:         24
        .size:           8
        .value_kind:     global_buffer
      - .actual_access:  read_only
        .address_space:  global
        .offset:         32
        .size:           8
        .value_kind:     global_buffer
      - .offset:         40
        .size:           8
        .value_kind:     by_value
      - .address_space:  global
        .offset:         48
        .size:           8
        .value_kind:     global_buffer
      - .address_space:  global
        .offset:         56
        .size:           8
        .value_kind:     global_buffer
      - .address_space:  global
        .offset:         64
        .size:           8
        .value_kind:     global_buffer
      - .address_space:  global
        .offset:         72
        .size:           8
        .value_kind:     global_buffer
      - .offset:         80
        .size:           4
        .value_kind:     by_value
      - .address_space:  global
        .offset:         88
        .size:           8
        .value_kind:     global_buffer
      - .address_space:  global
        .offset:         96
        .size:           8
        .value_kind:     global_buffer
    .group_segment_fixed_size: 7840
    .kernarg_segment_align: 8
    .kernarg_segment_size: 104
    .language:       OpenCL C
    .language_version:
      - 2
      - 0
    .max_flat_workgroup_size: 56
    .name:           bluestein_single_back_len1960_dim1_half_op_CI_CI
    .private_segment_fixed_size: 52
    .sgpr_count:     26
    .sgpr_spill_count: 0
    .symbol:         bluestein_single_back_len1960_dim1_half_op_CI_CI.kd
    .uniform_work_group_size: 1
    .uses_dynamic_stack: false
    .vgpr_count:     256
    .vgpr_spill_count: 12
    .wavefront_size: 32
    .workgroup_processor_mode: 1
amdhsa.target:   amdgcn-amd-amdhsa--gfx1030
amdhsa.version:
  - 1
  - 2
...

	.end_amdgpu_metadata
